;; amdgpu-corpus repo=ROCm/rocFFT kind=compiled arch=gfx1201 opt=O3
	.text
	.amdgcn_target "amdgcn-amd-amdhsa--gfx1201"
	.amdhsa_code_object_version 6
	.protected	fft_rtc_fwd_len1920_factors_10_6_16_2_wgs_240_tpt_120_halfLds_sp_op_CI_CI_sbrr_dirReg ; -- Begin function fft_rtc_fwd_len1920_factors_10_6_16_2_wgs_240_tpt_120_halfLds_sp_op_CI_CI_sbrr_dirReg
	.globl	fft_rtc_fwd_len1920_factors_10_6_16_2_wgs_240_tpt_120_halfLds_sp_op_CI_CI_sbrr_dirReg
	.p2align	8
	.type	fft_rtc_fwd_len1920_factors_10_6_16_2_wgs_240_tpt_120_halfLds_sp_op_CI_CI_sbrr_dirReg,@function
fft_rtc_fwd_len1920_factors_10_6_16_2_wgs_240_tpt_120_halfLds_sp_op_CI_CI_sbrr_dirReg: ; @fft_rtc_fwd_len1920_factors_10_6_16_2_wgs_240_tpt_120_halfLds_sp_op_CI_CI_sbrr_dirReg
; %bb.0:
	s_clause 0x2
	s_load_b128 s[12:15], s[0:1], 0x18
	s_load_b128 s[8:11], s[0:1], 0x0
	;; [unrolled: 1-line block ×3, first 2 shown]
	v_mul_u32_u24_e32 v1, 0x223, v0
	v_mov_b32_e32 v3, 0
	v_mov_b32_e32 v47, 0
	;; [unrolled: 1-line block ×3, first 2 shown]
	s_wait_kmcnt 0x0
	s_load_b64 s[18:19], s[12:13], 0x0
	s_load_b64 s[16:17], s[14:15], 0x0
	v_lshrrev_b32_e32 v49, 16, v1
	v_cmp_lt_u64_e64 s2, s[10:11], 2
	v_mov_b32_e32 v8, v3
	s_delay_alu instid0(VALU_DEP_3) | instskip(NEXT) | instid1(VALU_DEP_3)
	v_lshl_add_u32 v7, ttmp9, 1, v49
	s_and_b32 vcc_lo, exec_lo, s2
	s_cbranch_vccnz .LBB0_8
; %bb.1:
	s_load_b64 s[2:3], s[0:1], 0x10
	v_mov_b32_e32 v47, 0
	v_mov_b32_e32 v48, 0
	s_delay_alu instid0(VALU_DEP_2)
	v_mov_b32_e32 v1, v47
	s_add_nc_u64 s[20:21], s[14:15], 8
	s_add_nc_u64 s[22:23], s[12:13], 8
	s_mov_b64 s[24:25], 1
	v_mov_b32_e32 v2, v48
	s_wait_kmcnt 0x0
	s_add_nc_u64 s[26:27], s[2:3], 8
	s_mov_b32 s3, 0
.LBB0_2:                                ; =>This Inner Loop Header: Depth=1
	s_load_b64 s[28:29], s[26:27], 0x0
                                        ; implicit-def: $vgpr5_vgpr6
	s_mov_b32 s2, exec_lo
	s_wait_kmcnt 0x0
	v_or_b32_e32 v4, s29, v8
	s_delay_alu instid0(VALU_DEP_1)
	v_cmpx_ne_u64_e32 0, v[3:4]
	s_wait_alu 0xfffe
	s_xor_b32 s30, exec_lo, s2
	s_cbranch_execz .LBB0_4
; %bb.3:                                ;   in Loop: Header=BB0_2 Depth=1
	s_cvt_f32_u32 s2, s28
	s_cvt_f32_u32 s31, s29
	s_sub_nc_u64 s[36:37], 0, s[28:29]
	s_wait_alu 0xfffe
	s_delay_alu instid0(SALU_CYCLE_1) | instskip(SKIP_1) | instid1(SALU_CYCLE_2)
	s_fmamk_f32 s2, s31, 0x4f800000, s2
	s_wait_alu 0xfffe
	v_s_rcp_f32 s2, s2
	s_delay_alu instid0(TRANS32_DEP_1) | instskip(SKIP_1) | instid1(SALU_CYCLE_2)
	s_mul_f32 s2, s2, 0x5f7ffffc
	s_wait_alu 0xfffe
	s_mul_f32 s31, s2, 0x2f800000
	s_wait_alu 0xfffe
	s_delay_alu instid0(SALU_CYCLE_2) | instskip(SKIP_1) | instid1(SALU_CYCLE_2)
	s_trunc_f32 s31, s31
	s_wait_alu 0xfffe
	s_fmamk_f32 s2, s31, 0xcf800000, s2
	s_cvt_u32_f32 s35, s31
	s_wait_alu 0xfffe
	s_delay_alu instid0(SALU_CYCLE_1) | instskip(SKIP_1) | instid1(SALU_CYCLE_2)
	s_cvt_u32_f32 s34, s2
	s_wait_alu 0xfffe
	s_mul_u64 s[38:39], s[36:37], s[34:35]
	s_wait_alu 0xfffe
	s_mul_hi_u32 s41, s34, s39
	s_mul_i32 s40, s34, s39
	s_mul_hi_u32 s2, s34, s38
	s_mul_i32 s33, s35, s38
	s_wait_alu 0xfffe
	s_add_nc_u64 s[40:41], s[2:3], s[40:41]
	s_mul_hi_u32 s31, s35, s38
	s_mul_hi_u32 s42, s35, s39
	s_add_co_u32 s2, s40, s33
	s_wait_alu 0xfffe
	s_add_co_ci_u32 s2, s41, s31
	s_mul_i32 s38, s35, s39
	s_add_co_ci_u32 s39, s42, 0
	s_wait_alu 0xfffe
	s_add_nc_u64 s[38:39], s[2:3], s[38:39]
	s_wait_alu 0xfffe
	v_add_co_u32 v4, s2, s34, s38
	s_delay_alu instid0(VALU_DEP_1) | instskip(SKIP_1) | instid1(VALU_DEP_1)
	s_cmp_lg_u32 s2, 0
	s_add_co_ci_u32 s35, s35, s39
	v_readfirstlane_b32 s34, v4
	s_wait_alu 0xfffe
	s_delay_alu instid0(VALU_DEP_1)
	s_mul_u64 s[36:37], s[36:37], s[34:35]
	s_wait_alu 0xfffe
	s_mul_hi_u32 s39, s34, s37
	s_mul_i32 s38, s34, s37
	s_mul_hi_u32 s2, s34, s36
	s_mul_i32 s33, s35, s36
	s_wait_alu 0xfffe
	s_add_nc_u64 s[38:39], s[2:3], s[38:39]
	s_mul_hi_u32 s31, s35, s36
	s_mul_hi_u32 s34, s35, s37
	s_wait_alu 0xfffe
	s_add_co_u32 s2, s38, s33
	s_add_co_ci_u32 s2, s39, s31
	s_mul_i32 s36, s35, s37
	s_add_co_ci_u32 s37, s34, 0
	s_wait_alu 0xfffe
	s_add_nc_u64 s[36:37], s[2:3], s[36:37]
	s_wait_alu 0xfffe
	v_add_co_u32 v6, s2, v4, s36
	s_delay_alu instid0(VALU_DEP_1) | instskip(SKIP_1) | instid1(VALU_DEP_1)
	s_cmp_lg_u32 s2, 0
	s_add_co_ci_u32 s2, s35, s37
	v_mul_hi_u32 v13, v7, v6
	s_wait_alu 0xfffe
	v_mad_co_u64_u32 v[4:5], null, v7, s2, 0
	v_mad_co_u64_u32 v[9:10], null, v8, v6, 0
	;; [unrolled: 1-line block ×3, first 2 shown]
	s_delay_alu instid0(VALU_DEP_3) | instskip(SKIP_1) | instid1(VALU_DEP_4)
	v_add_co_u32 v4, vcc_lo, v13, v4
	s_wait_alu 0xfffd
	v_add_co_ci_u32_e32 v5, vcc_lo, 0, v5, vcc_lo
	s_delay_alu instid0(VALU_DEP_2) | instskip(SKIP_1) | instid1(VALU_DEP_2)
	v_add_co_u32 v4, vcc_lo, v4, v9
	s_wait_alu 0xfffd
	v_add_co_ci_u32_e32 v4, vcc_lo, v5, v10, vcc_lo
	s_wait_alu 0xfffd
	v_add_co_ci_u32_e32 v5, vcc_lo, 0, v12, vcc_lo
	s_delay_alu instid0(VALU_DEP_2) | instskip(SKIP_1) | instid1(VALU_DEP_2)
	v_add_co_u32 v9, vcc_lo, v4, v11
	s_wait_alu 0xfffd
	v_add_co_ci_u32_e32 v6, vcc_lo, 0, v5, vcc_lo
	s_delay_alu instid0(VALU_DEP_2) | instskip(SKIP_1) | instid1(VALU_DEP_3)
	v_mul_lo_u32 v10, s29, v9
	v_mad_co_u64_u32 v[4:5], null, s28, v9, 0
	v_mul_lo_u32 v11, s28, v6
	s_delay_alu instid0(VALU_DEP_2) | instskip(NEXT) | instid1(VALU_DEP_2)
	v_sub_co_u32 v4, vcc_lo, v7, v4
	v_add3_u32 v5, v5, v11, v10
	s_delay_alu instid0(VALU_DEP_1) | instskip(SKIP_1) | instid1(VALU_DEP_1)
	v_sub_nc_u32_e32 v10, v8, v5
	s_wait_alu 0xfffd
	v_subrev_co_ci_u32_e64 v10, s2, s29, v10, vcc_lo
	v_add_co_u32 v11, s2, v9, 2
	s_wait_alu 0xf1ff
	v_add_co_ci_u32_e64 v12, s2, 0, v6, s2
	v_sub_co_u32 v13, s2, v4, s28
	v_sub_co_ci_u32_e32 v5, vcc_lo, v8, v5, vcc_lo
	s_wait_alu 0xf1ff
	v_subrev_co_ci_u32_e64 v10, s2, 0, v10, s2
	s_delay_alu instid0(VALU_DEP_3) | instskip(NEXT) | instid1(VALU_DEP_3)
	v_cmp_le_u32_e32 vcc_lo, s28, v13
	v_cmp_eq_u32_e64 s2, s29, v5
	s_wait_alu 0xfffd
	v_cndmask_b32_e64 v13, 0, -1, vcc_lo
	v_cmp_le_u32_e32 vcc_lo, s29, v10
	s_wait_alu 0xfffd
	v_cndmask_b32_e64 v14, 0, -1, vcc_lo
	v_cmp_le_u32_e32 vcc_lo, s28, v4
	;; [unrolled: 3-line block ×3, first 2 shown]
	s_wait_alu 0xfffd
	v_cndmask_b32_e64 v15, 0, -1, vcc_lo
	v_cmp_eq_u32_e32 vcc_lo, s29, v10
	s_wait_alu 0xf1ff
	s_delay_alu instid0(VALU_DEP_2)
	v_cndmask_b32_e64 v4, v15, v4, s2
	s_wait_alu 0xfffd
	v_cndmask_b32_e32 v10, v14, v13, vcc_lo
	v_add_co_u32 v13, vcc_lo, v9, 1
	s_wait_alu 0xfffd
	v_add_co_ci_u32_e32 v14, vcc_lo, 0, v6, vcc_lo
	s_delay_alu instid0(VALU_DEP_3) | instskip(SKIP_1) | instid1(VALU_DEP_2)
	v_cmp_ne_u32_e32 vcc_lo, 0, v10
	s_wait_alu 0xfffd
	v_dual_cndmask_b32 v5, v14, v12 :: v_dual_cndmask_b32 v10, v13, v11
	v_cmp_ne_u32_e32 vcc_lo, 0, v4
	s_wait_alu 0xfffd
	s_delay_alu instid0(VALU_DEP_2)
	v_dual_cndmask_b32 v6, v6, v5 :: v_dual_cndmask_b32 v5, v9, v10
.LBB0_4:                                ;   in Loop: Header=BB0_2 Depth=1
	s_wait_alu 0xfffe
	s_and_not1_saveexec_b32 s2, s30
	s_cbranch_execz .LBB0_6
; %bb.5:                                ;   in Loop: Header=BB0_2 Depth=1
	v_cvt_f32_u32_e32 v4, s28
	s_sub_co_i32 s30, 0, s28
	s_delay_alu instid0(VALU_DEP_1) | instskip(NEXT) | instid1(TRANS32_DEP_1)
	v_rcp_iflag_f32_e32 v4, v4
	v_mul_f32_e32 v4, 0x4f7ffffe, v4
	s_delay_alu instid0(VALU_DEP_1) | instskip(SKIP_1) | instid1(VALU_DEP_1)
	v_cvt_u32_f32_e32 v4, v4
	s_wait_alu 0xfffe
	v_mul_lo_u32 v5, s30, v4
	s_delay_alu instid0(VALU_DEP_1) | instskip(NEXT) | instid1(VALU_DEP_1)
	v_mul_hi_u32 v5, v4, v5
	v_add_nc_u32_e32 v4, v4, v5
	s_delay_alu instid0(VALU_DEP_1) | instskip(NEXT) | instid1(VALU_DEP_1)
	v_mul_hi_u32 v4, v7, v4
	v_mul_lo_u32 v5, v4, s28
	v_add_nc_u32_e32 v6, 1, v4
	s_delay_alu instid0(VALU_DEP_2) | instskip(NEXT) | instid1(VALU_DEP_1)
	v_sub_nc_u32_e32 v5, v7, v5
	v_subrev_nc_u32_e32 v9, s28, v5
	v_cmp_le_u32_e32 vcc_lo, s28, v5
	s_wait_alu 0xfffd
	s_delay_alu instid0(VALU_DEP_2) | instskip(NEXT) | instid1(VALU_DEP_1)
	v_dual_cndmask_b32 v5, v5, v9 :: v_dual_cndmask_b32 v4, v4, v6
	v_cmp_le_u32_e32 vcc_lo, s28, v5
	s_delay_alu instid0(VALU_DEP_2) | instskip(SKIP_1) | instid1(VALU_DEP_1)
	v_add_nc_u32_e32 v6, 1, v4
	s_wait_alu 0xfffd
	v_dual_cndmask_b32 v5, v4, v6 :: v_dual_mov_b32 v6, v3
.LBB0_6:                                ;   in Loop: Header=BB0_2 Depth=1
	s_wait_alu 0xfffe
	s_or_b32 exec_lo, exec_lo, s2
	s_delay_alu instid0(VALU_DEP_1) | instskip(NEXT) | instid1(VALU_DEP_2)
	v_mul_lo_u32 v4, v6, s28
	v_mul_lo_u32 v11, v5, s29
	s_load_b64 s[30:31], s[22:23], 0x0
	v_mad_co_u64_u32 v[9:10], null, v5, s28, 0
	s_load_b64 s[28:29], s[20:21], 0x0
	s_add_nc_u64 s[24:25], s[24:25], 1
	s_add_nc_u64 s[20:21], s[20:21], 8
	s_wait_alu 0xfffe
	v_cmp_ge_u64_e64 s2, s[24:25], s[10:11]
	s_add_nc_u64 s[22:23], s[22:23], 8
	s_add_nc_u64 s[26:27], s[26:27], 8
	v_add3_u32 v4, v10, v11, v4
	v_sub_co_u32 v7, vcc_lo, v7, v9
	s_wait_alu 0xfffd
	s_delay_alu instid0(VALU_DEP_2) | instskip(SKIP_2) | instid1(VALU_DEP_1)
	v_sub_co_ci_u32_e32 v4, vcc_lo, v8, v4, vcc_lo
	s_and_b32 vcc_lo, exec_lo, s2
	s_wait_kmcnt 0x0
	v_mul_lo_u32 v8, s30, v4
	v_mul_lo_u32 v9, s31, v7
	v_mad_co_u64_u32 v[47:48], null, s30, v7, v[47:48]
	v_mul_lo_u32 v4, s28, v4
	v_mul_lo_u32 v10, s29, v7
	v_mad_co_u64_u32 v[1:2], null, s28, v7, v[1:2]
	s_delay_alu instid0(VALU_DEP_4) | instskip(NEXT) | instid1(VALU_DEP_2)
	v_add3_u32 v48, v9, v48, v8
	v_add3_u32 v2, v10, v2, v4
	s_wait_alu 0xfffe
	s_cbranch_vccnz .LBB0_9
; %bb.7:                                ;   in Loop: Header=BB0_2 Depth=1
	v_dual_mov_b32 v8, v6 :: v_dual_mov_b32 v7, v5
	s_branch .LBB0_2
.LBB0_8:
	v_dual_mov_b32 v1, v47 :: v_dual_mov_b32 v2, v48
	s_delay_alu instid0(VALU_DEP_2)
	v_dual_mov_b32 v5, v7 :: v_dual_mov_b32 v6, v8
.LBB0_9:
	s_load_b64 s[0:1], s[0:1], 0x28
	v_mul_hi_u32 v4, 0x2222223, v0
	s_lshl_b64 s[10:11], s[10:11], 3
                                        ; implicit-def: $vgpr3
	s_wait_alu 0xfffe
	s_add_nc_u64 s[2:3], s[14:15], s[10:11]
	s_wait_kmcnt 0x0
	v_cmp_gt_u64_e32 vcc_lo, s[0:1], v[5:6]
	v_cmp_le_u64_e64 s0, s[0:1], v[5:6]
	s_delay_alu instid0(VALU_DEP_1)
	s_and_saveexec_b32 s1, s0
	s_wait_alu 0xfffe
	s_xor_b32 s0, exec_lo, s1
; %bb.10:
	v_mul_u32_u24_e32 v3, 0x78, v4
                                        ; implicit-def: $vgpr4
                                        ; implicit-def: $vgpr47_vgpr48
	s_delay_alu instid0(VALU_DEP_1)
	v_sub_nc_u32_e32 v3, v0, v3
                                        ; implicit-def: $vgpr0
; %bb.11:
	s_wait_alu 0xfffe
	s_or_saveexec_b32 s1, s0
	s_load_b64 s[2:3], s[2:3], 0x0
                                        ; implicit-def: $vgpr8
                                        ; implicit-def: $vgpr10
                                        ; implicit-def: $vgpr14
                                        ; implicit-def: $vgpr12
                                        ; implicit-def: $vgpr28
                                        ; implicit-def: $vgpr20
                                        ; implicit-def: $vgpr26
                                        ; implicit-def: $vgpr18
                                        ; implicit-def: $vgpr24
                                        ; implicit-def: $vgpr16
                                        ; implicit-def: $vgpr22
                                        ; implicit-def: $vgpr30
                                        ; implicit-def: $vgpr34
                                        ; implicit-def: $vgpr32
                                        ; implicit-def: $vgpr44
                                        ; implicit-def: $vgpr38
                                        ; implicit-def: $vgpr46
                                        ; implicit-def: $vgpr36
                                        ; implicit-def: $vgpr42
                                        ; implicit-def: $vgpr40
	s_xor_b32 exec_lo, exec_lo, s1
	s_cbranch_execz .LBB0_15
; %bb.12:
	v_mul_u32_u24_e32 v3, 0x78, v4
	s_add_nc_u64 s[10:11], s[12:13], s[10:11]
	v_lshlrev_b64_e32 v[7:8], 3, v[47:48]
	s_load_b64 s[10:11], s[10:11], 0x0
                                        ; implicit-def: $vgpr39
                                        ; implicit-def: $vgpr41
                                        ; implicit-def: $vgpr35
                                        ; implicit-def: $vgpr45
                                        ; implicit-def: $vgpr37
                                        ; implicit-def: $vgpr43
                                        ; implicit-def: $vgpr33
	s_delay_alu instid0(VALU_DEP_2) | instskip(NEXT) | instid1(VALU_DEP_1)
	v_sub_nc_u32_e32 v3, v0, v3
	v_mad_co_u64_u32 v[9:10], null, s18, v3, 0
	v_add_nc_u32_e32 v25, 0x240, v3
	v_or_b32_e32 v26, 0x300, v3
	v_or_b32_e32 v24, 0x180, v3
	v_add_nc_u32_e32 v28, 0x540, v3
	v_dual_mov_b32 v0, v10 :: v_dual_add_nc_u32 v31, 0x6c0, v3
	s_delay_alu instid0(VALU_DEP_3) | instskip(SKIP_1) | instid1(VALU_DEP_3)
	v_mad_co_u64_u32 v[13:14], null, s18, v24, 0
	v_mad_co_u64_u32 v[17:18], null, s18, v25, 0
	;; [unrolled: 1-line block ×4, first 2 shown]
	v_add_nc_u32_e32 v22, 0xc0, v3
	s_wait_kmcnt 0x0
	v_mul_lo_u32 v10, s11, v5
	v_mul_lo_u32 v23, s10, v6
	v_mad_co_u64_u32 v[15:16], null, s10, v5, 0
	v_mad_co_u64_u32 v[11:12], null, s18, v22, 0
	v_mov_b32_e32 v4, v14
	s_delay_alu instid0(VALU_DEP_3) | instskip(SKIP_1) | instid1(VALU_DEP_4)
	v_add3_u32 v16, v16, v23, v10
	v_mov_b32_e32 v10, v19
	v_mov_b32_e32 v0, v12
	;; [unrolled: 1-line block ×3, first 2 shown]
	v_mad_co_u64_u32 v[18:19], null, s19, v24, v[4:5]
	v_lshlrev_b64_e32 v[14:15], 3, v[15:16]
	v_add_nc_u32_e32 v19, 0x3c0, v3
	v_mad_co_u64_u32 v[22:23], null, s19, v22, v[0:1]
	v_mad_co_u64_u32 v[23:24], null, s19, v25, v[12:13]
	s_delay_alu instid0(VALU_DEP_4) | instskip(SKIP_2) | instid1(VALU_DEP_4)
	v_add_co_u32 v0, s0, s4, v14
	s_wait_alu 0xf1ff
	v_add_co_ci_u32_e64 v4, s0, s5, v15, s0
	v_mov_b32_e32 v12, v22
	v_lshlrev_b64_e32 v[9:10], 3, v[9:10]
	v_add_co_u32 v0, s0, v0, v7
	s_wait_alu 0xf1ff
	v_add_co_ci_u32_e64 v4, s0, v4, v8, s0
	v_lshlrev_b64_e32 v[7:8], 3, v[11:12]
	s_delay_alu instid0(VALU_DEP_3) | instskip(SKIP_1) | instid1(VALU_DEP_3)
	v_add_co_u32 v9, s0, v0, v9
	s_wait_alu 0xf1ff
	v_add_co_ci_u32_e64 v10, s0, v4, v10, s0
	v_mov_b32_e32 v14, v18
	v_mov_b32_e32 v18, v23
	v_add_co_u32 v11, s0, v0, v7
	v_mov_b32_e32 v7, v21
	s_wait_alu 0xf1ff
	v_add_co_ci_u32_e64 v12, s0, v4, v8, s0
	v_lshlrev_b64_e32 v[15:16], 3, v[17:18]
	v_mad_co_u64_u32 v[17:18], null, s18, v19, 0
	v_mad_co_u64_u32 v[7:8], null, s19, v26, v[7:8]
	v_lshlrev_b64_e32 v[13:14], 3, v[13:14]
	v_or_b32_e32 v26, 0x480, v3
	v_mad_co_u64_u32 v[24:25], null, s18, v28, 0
	s_mov_b32 s4, exec_lo
	s_delay_alu instid0(VALU_DEP_2) | instskip(NEXT) | instid1(VALU_DEP_4)
	v_mad_co_u64_u32 v[22:23], null, s18, v26, 0
	v_add_co_u32 v13, s0, v0, v13
	v_mov_b32_e32 v21, v7
	v_mov_b32_e32 v7, v18
	s_wait_alu 0xf1ff
	v_add_co_ci_u32_e64 v14, s0, v4, v14, s0
	v_add_co_u32 v15, s0, v0, v15
	s_wait_alu 0xf1ff
	v_add_co_ci_u32_e64 v16, s0, v4, v16, s0
	v_mad_co_u64_u32 v[18:19], null, s19, v19, v[7:8]
	s_clause 0x3
	global_load_b64 v[7:8], v[9:10], off
	global_load_b64 v[9:10], v[11:12], off
	;; [unrolled: 1-line block ×4, first 2 shown]
	v_mov_b32_e32 v15, v23
	v_lshlrev_b64_e32 v[19:20], 3, v[20:21]
	v_or_b32_e32 v21, 0x600, v3
	s_delay_alu instid0(VALU_DEP_3) | instskip(NEXT) | instid1(VALU_DEP_2)
	v_mad_co_u64_u32 v[15:16], null, s19, v26, v[15:16]
	v_mad_co_u64_u32 v[26:27], null, s18, v21, 0
	v_mov_b32_e32 v16, v25
	v_add_co_u32 v19, s0, v0, v19
	s_wait_alu 0xf1ff
	v_add_co_ci_u32_e64 v20, s0, v4, v20, s0
	s_delay_alu instid0(VALU_DEP_3) | instskip(SKIP_3) | instid1(VALU_DEP_4)
	v_mad_co_u64_u32 v[28:29], null, s19, v28, v[16:17]
	v_lshlrev_b64_e32 v[17:18], 3, v[17:18]
	v_mad_co_u64_u32 v[29:30], null, s18, v31, 0
	v_dual_mov_b32 v16, v27 :: v_dual_mov_b32 v23, v15
	v_mov_b32_e32 v25, v28
	s_delay_alu instid0(VALU_DEP_2) | instskip(NEXT) | instid1(VALU_DEP_4)
	v_mad_co_u64_u32 v[15:16], null, s19, v21, v[16:17]
	v_mov_b32_e32 v16, v30
	v_add_co_u32 v17, s0, v0, v17
	v_lshlrev_b64_e32 v[21:22], 3, v[22:23]
	s_wait_alu 0xf1ff
	v_add_co_ci_u32_e64 v18, s0, v4, v18, s0
	s_delay_alu instid0(VALU_DEP_3)
	v_mad_co_u64_u32 v[30:31], null, s19, v31, v[16:17]
	v_mov_b32_e32 v27, v15
	v_lshlrev_b64_e32 v[23:24], 3, v[24:25]
	v_add_co_u32 v15, s0, v0, v21
	s_wait_alu 0xf1ff
	v_add_co_ci_u32_e64 v16, s0, v4, v22, s0
	v_lshlrev_b64_e32 v[21:22], 3, v[26:27]
	s_delay_alu instid0(VALU_DEP_4) | instskip(SKIP_3) | instid1(VALU_DEP_4)
	v_add_co_u32 v23, s0, v0, v23
	v_lshlrev_b64_e32 v[25:26], 3, v[29:30]
	s_wait_alu 0xf1ff
	v_add_co_ci_u32_e64 v24, s0, v4, v24, s0
	v_add_co_u32 v21, s0, v0, v21
	s_wait_alu 0xf1ff
	v_add_co_ci_u32_e64 v22, s0, v4, v22, s0
	v_add_co_u32 v29, s0, v0, v25
	s_wait_alu 0xf1ff
	v_add_co_ci_u32_e64 v30, s0, v4, v26, s0
	s_clause 0x5
	global_load_b64 v[27:28], v[19:20], off
	global_load_b64 v[19:20], v[17:18], off
	;; [unrolled: 1-line block ×6, first 2 shown]
                                        ; implicit-def: $vgpr31
                                        ; implicit-def: $vgpr29
                                        ; implicit-def: $vgpr21
	v_cmpx_gt_u32_e32 0x48, v3
	s_cbranch_execz .LBB0_14
; %bb.13:
	v_add_nc_u32_e32 v46, 0x4f8, v3
	v_add_nc_u32_e32 v48, 0x5b8, v3
	;; [unrolled: 1-line block ×4, first 2 shown]
	s_delay_alu instid0(VALU_DEP_4) | instskip(SKIP_1) | instid1(VALU_DEP_1)
	v_mad_co_u64_u32 v[41:42], null, s18, v46, 0
	v_add_nc_u32_e32 v38, 0x1f8, v3
	v_mad_co_u64_u32 v[31:32], null, s18, v38, 0
	v_add_nc_u32_e32 v35, 0x78, v3
	s_delay_alu instid0(VALU_DEP_1) | instskip(SKIP_1) | instid1(VALU_DEP_1)
	v_mad_co_u64_u32 v[21:22], null, s18, v35, 0
	s_wait_loadcnt 0x1
	v_mad_co_u64_u32 v[35:36], null, s19, v35, v[22:23]
	s_delay_alu instid0(VALU_DEP_4) | instskip(NEXT) | instid1(VALU_DEP_1)
	v_dual_mov_b32 v22, v32 :: v_dual_add_nc_u32 v39, 0x2b8, v3
	v_mad_co_u64_u32 v[33:34], null, s18, v39, 0
	s_delay_alu instid0(VALU_DEP_1) | instskip(NEXT) | instid1(VALU_DEP_1)
	v_dual_mov_b32 v32, v34 :: v_dual_add_nc_u32 v37, 0x138, v3
	v_mad_co_u64_u32 v[29:30], null, s18, v37, 0
	s_delay_alu instid0(VALU_DEP_1)
	v_mad_co_u64_u32 v[36:37], null, s19, v37, v[30:31]
	v_mad_co_u64_u32 v[37:38], null, s19, v38, v[22:23]
	v_add_nc_u32_e32 v38, 0x378, v3
	v_mov_b32_e32 v22, v35
	v_mad_co_u64_u32 v[34:35], null, s19, v39, v[32:33]
	v_mov_b32_e32 v30, v36
	s_delay_alu instid0(VALU_DEP_4) | instskip(NEXT) | instid1(VALU_DEP_4)
	v_mad_co_u64_u32 v[35:36], null, s18, v38, 0
	v_lshlrev_b64_e32 v[21:22], 3, v[21:22]
	v_mov_b32_e32 v32, v37
	s_delay_alu instid0(VALU_DEP_4) | instskip(SKIP_1) | instid1(VALU_DEP_4)
	v_lshlrev_b64_e32 v[29:30], 3, v[29:30]
	v_lshlrev_b64_e32 v[33:34], 3, v[33:34]
	v_add_co_u32 v21, s0, v0, v21
	s_delay_alu instid0(VALU_DEP_4)
	v_lshlrev_b64_e32 v[31:32], 3, v[31:32]
	v_mad_co_u64_u32 v[36:37], null, s19, v38, v[36:37]
	v_mad_co_u64_u32 v[37:38], null, s18, v43, 0
	s_wait_alu 0xf1ff
	v_add_co_ci_u32_e64 v22, s0, v4, v22, s0
	v_add_co_u32 v29, s0, v0, v29
	s_wait_alu 0xf1ff
	v_add_co_ci_u32_e64 v30, s0, v4, v30, s0
	v_add_co_u32 v31, s0, v0, v31
	;; [unrolled: 3-line block ×3, first 2 shown]
	v_mov_b32_e32 v33, v38
	s_wait_alu 0xf1ff
	v_add_co_ci_u32_e64 v40, s0, v4, v34, s0
	v_lshlrev_b64_e32 v[35:36], 3, v[35:36]
	s_delay_alu instid0(VALU_DEP_3)
	v_mad_co_u64_u32 v[43:44], null, s19, v43, v[33:34]
	v_mad_co_u64_u32 v[44:45], null, s18, v48, 0
	s_clause 0x3
	global_load_b64 v[21:22], v[21:22], off
	global_load_b64 v[29:30], v[29:30], off
	;; [unrolled: 1-line block ×4, first 2 shown]
	v_mov_b32_e32 v39, v42
	v_add_co_u32 v35, s0, v0, v35
	v_dual_mov_b32 v38, v43 :: v_dual_add_nc_u32 v43, 0x678, v3
	s_delay_alu instid0(VALU_DEP_3) | instskip(SKIP_1) | instid1(VALU_DEP_3)
	v_mad_co_u64_u32 v[39:40], null, s19, v46, v[39:40]
	v_mov_b32_e32 v40, v45
	v_lshlrev_b64_e32 v[37:38], 3, v[37:38]
	s_delay_alu instid0(VALU_DEP_4) | instskip(SKIP_4) | instid1(VALU_DEP_4)
	v_mad_co_u64_u32 v[46:47], null, s18, v43, 0
	s_wait_alu 0xf1ff
	v_add_co_ci_u32_e64 v36, s0, v4, v36, s0
	v_mad_co_u64_u32 v[50:51], null, s19, v48, v[40:41]
	v_mad_co_u64_u32 v[51:52], null, s18, v53, 0
	v_mov_b32_e32 v40, v47
	v_mov_b32_e32 v42, v39
	v_add_co_u32 v37, s0, v0, v37
	v_mov_b32_e32 v45, v50
	s_delay_alu instid0(VALU_DEP_4) | instskip(NEXT) | instid1(VALU_DEP_4)
	v_mad_co_u64_u32 v[39:40], null, s19, v43, v[40:41]
	v_lshlrev_b64_e32 v[41:42], 3, v[41:42]
	v_mov_b32_e32 v40, v52
	s_delay_alu instid0(VALU_DEP_4) | instskip(SKIP_2) | instid1(VALU_DEP_3)
	v_lshlrev_b64_e32 v[43:44], 3, v[44:45]
	s_wait_alu 0xf1ff
	v_add_co_ci_u32_e64 v38, s0, v4, v38, s0
	v_mad_co_u64_u32 v[52:53], null, s19, v53, v[40:41]
	v_mov_b32_e32 v47, v39
	v_add_co_u32 v41, s0, v0, v41
	s_wait_alu 0xf1ff
	v_add_co_ci_u32_e64 v42, s0, v4, v42, s0
	s_delay_alu instid0(VALU_DEP_3) | instskip(SKIP_4) | instid1(VALU_DEP_4)
	v_lshlrev_b64_e32 v[39:40], 3, v[46:47]
	v_add_co_u32 v45, s0, v0, v43
	s_wait_alu 0xf1ff
	v_add_co_ci_u32_e64 v46, s0, v4, v44, s0
	v_lshlrev_b64_e32 v[43:44], 3, v[51:52]
	v_add_co_u32 v47, s0, v0, v39
	s_wait_alu 0xf1ff
	v_add_co_ci_u32_e64 v48, s0, v4, v40, s0
	s_delay_alu instid0(VALU_DEP_3)
	v_add_co_u32 v50, s0, v0, v43
	s_wait_alu 0xf1ff
	v_add_co_ci_u32_e64 v51, s0, v4, v44, s0
	s_clause 0x5
	global_load_b64 v[43:44], v[35:36], off
	global_load_b64 v[39:40], v[37:38], off
	;; [unrolled: 1-line block ×6, first 2 shown]
.LBB0_14:
	s_wait_alu 0xfffe
	s_or_b32 exec_lo, exec_lo, s4
.LBB0_15:
	s_delay_alu instid0(SALU_CYCLE_1)
	s_or_b32 exec_lo, exec_lo, s1
	s_wait_loadcnt 0x3
	v_add_f32_e32 v0, v27, v25
	s_wait_loadcnt 0x1
	v_dual_add_f32 v47, v7, v13 :: v_dual_sub_f32 v48, v14, v24
	v_dual_sub_f32 v49, v28, v26 :: v_dual_and_b32 v4, 1, v49
	s_delay_alu instid0(VALU_DEP_3) | instskip(NEXT) | instid1(VALU_DEP_3)
	v_fma_f32 v50, -0.5, v0, v7
	v_add_f32_e32 v47, v47, v27
	v_dual_sub_f32 v0, v13, v27 :: v_dual_sub_f32 v51, v23, v25
	s_delay_alu instid0(VALU_DEP_4) | instskip(NEXT) | instid1(VALU_DEP_4)
	v_cmp_eq_u32_e64 s0, 1, v4
	v_dual_fmamk_f32 v52, v48, 0x3f737871, v50 :: v_dual_add_f32 v53, v13, v23
	s_delay_alu instid0(VALU_DEP_3) | instskip(SKIP_1) | instid1(VALU_DEP_3)
	v_dual_fmac_f32 v50, 0xbf737871, v48 :: v_dual_add_f32 v51, v0, v51
	s_wait_alu 0xf1ff
	v_cndmask_b32_e64 v0, 0, 0x780, s0
	s_delay_alu instid0(VALU_DEP_3)
	v_fmac_f32_e32 v52, 0x3f167918, v49
	v_sub_f32_e32 v54, v25, v23
	v_dual_fmac_f32 v50, 0xbf167918, v49 :: v_dual_add_f32 v55, v9, v11
	v_fmac_f32_e32 v7, -0.5, v53
	v_add_f32_e32 v4, v19, v17
	v_sub_f32_e32 v53, v27, v13
	v_dual_add_f32 v47, v47, v25 :: v_dual_fmac_f32 v52, 0x3e9e377a, v51
	v_fmac_f32_e32 v50, 0x3e9e377a, v51
	v_fmamk_f32 v51, v49, 0xbf737871, v7
	v_fma_f32 v63, -0.5, v4, v9
	s_wait_loadcnt 0x0
	v_dual_sub_f32 v4, v12, v16 :: v_dual_add_f32 v53, v53, v54
	v_fmac_f32_e32 v7, 0x3f737871, v49
	v_add_f32_e32 v49, v55, v19
	v_dual_fmac_f32 v51, 0x3f167918, v48 :: v_dual_sub_f32 v54, v20, v18
	s_delay_alu instid0(VALU_DEP_4) | instskip(NEXT) | instid1(VALU_DEP_4)
	v_dual_fmamk_f32 v64, v4, 0x3f737871, v63 :: v_dual_sub_f32 v55, v11, v19
	v_dual_sub_f32 v56, v15, v17 :: v_dual_fmac_f32 v7, 0xbf167918, v48
	s_delay_alu instid0(VALU_DEP_4) | instskip(NEXT) | instid1(VALU_DEP_3)
	v_dual_add_f32 v48, v49, v17 :: v_dual_add_f32 v49, v11, v15
	v_fmac_f32_e32 v64, 0x3f167918, v54
	v_fmac_f32_e32 v63, 0xbf737871, v4
	v_add_f32_e32 v47, v47, v23
	v_fmac_f32_e32 v7, 0x3e9e377a, v53
	v_fmac_f32_e32 v9, -0.5, v49
	v_dual_add_f32 v55, v55, v56 :: v_dual_add_f32 v48, v48, v15
	v_dual_sub_f32 v56, v17, v15 :: v_dual_fmac_f32 v63, 0xbf167918, v54
	s_delay_alu instid0(VALU_DEP_3) | instskip(NEXT) | instid1(VALU_DEP_3)
	v_fmamk_f32 v66, v54, 0xbf737871, v9
	v_dual_fmac_f32 v51, 0x3e9e377a, v53 :: v_dual_fmac_f32 v64, 0x3e9e377a, v55
	v_sub_f32_e32 v53, v19, v11
	v_dual_sub_f32 v19, v19, v17 :: v_dual_sub_f32 v62, v34, v46
	s_delay_alu instid0(VALU_DEP_4) | instskip(SKIP_4) | instid1(VALU_DEP_4)
	v_fmac_f32_e32 v66, 0x3f167918, v4
	v_fmac_f32_e32 v9, 0x3f737871, v54
	v_dual_sub_f32 v54, v16, v18 :: v_dual_fmac_f32 v63, 0x3e9e377a, v55
	v_sub_f32_e32 v55, v20, v12
	v_sub_f32_e32 v61, v47, v48
	v_fmac_f32_e32 v9, 0xbf167918, v4
	v_sub_f32_e32 v4, v12, v20
	v_add_f32_e32 v53, v53, v56
	v_sub_f32_e32 v56, v18, v16
	v_cmp_gt_u32_e64 s1, 0x48, v3
	s_delay_alu instid0(VALU_DEP_4) | instskip(NEXT) | instid1(VALU_DEP_4)
	v_add_f32_e32 v4, v4, v54
	v_dual_add_f32 v49, v20, v18 :: v_dual_fmac_f32 v66, 0x3e9e377a, v53
	v_fmac_f32_e32 v9, 0x3e9e377a, v53
	v_mul_f32_e32 v53, 0x3f4f1bbd, v63
	s_delay_alu instid0(VALU_DEP_3) | instskip(SKIP_2) | instid1(VALU_DEP_2)
	v_fma_f32 v65, -0.5, v49, v10
	v_sub_f32_e32 v49, v11, v15
	v_add_f32_e32 v15, v12, v16
	v_fmamk_f32 v11, v49, 0xbf737871, v65
	v_fmac_f32_e32 v65, 0x3f737871, v49
	s_delay_alu instid0(VALU_DEP_1) | instskip(NEXT) | instid1(VALU_DEP_1)
	v_fmac_f32_e32 v65, 0x3f167918, v19
	v_fmac_f32_e32 v65, 0x3e9e377a, v4
	s_delay_alu instid0(VALU_DEP_1) | instskip(NEXT) | instid1(VALU_DEP_1)
	v_fma_f32 v53, 0x3f167918, v65, -v53
	v_dual_fmac_f32 v11, 0xbf167918, v19 :: v_dual_sub_f32 v76, v50, v53
	s_delay_alu instid0(VALU_DEP_1) | instskip(SKIP_2) | instid1(VALU_DEP_2)
	v_dual_fmac_f32 v11, 0x3e9e377a, v4 :: v_dual_mul_f32 v4, 0x3e9e377a, v9
	v_fma_f32 v17, -0.5, v15, v10
	v_dual_add_f32 v60, v50, v53 :: v_dual_sub_f32 v53, v31, v39
	v_fmamk_f32 v15, v19, 0x3f737871, v17
	v_fmac_f32_e32 v17, 0xbf737871, v19
	v_add_f32_e32 v19, v55, v56
	v_dual_add_f32 v56, v47, v48 :: v_dual_sub_f32 v47, v44, v42
	s_delay_alu instid0(VALU_DEP_4) | instskip(NEXT) | instid1(VALU_DEP_4)
	v_fmac_f32_e32 v15, 0xbf167918, v49
	v_fmac_f32_e32 v17, 0x3f167918, v49
	v_mul_f32_e32 v49, 0x3f167918, v11
	v_add_f32_e32 v55, v21, v33
	s_delay_alu instid0(VALU_DEP_2) | instskip(NEXT) | instid1(VALU_DEP_1)
	v_dual_sub_f32 v48, v33, v43 :: v_dual_fmac_f32 v49, 0x3f4f1bbd, v64
	v_add_f32_e32 v57, v52, v49
	v_sub_f32_e32 v73, v52, v49
	v_dual_sub_f32 v52, v40, v36 :: v_dual_fmac_f32 v17, 0x3e9e377a, v19
	s_delay_alu instid0(VALU_DEP_1) | instskip(SKIP_1) | instid1(VALU_DEP_2)
	v_fma_f32 v54, 0x3f737871, v17, -v4
	v_add_f32_e32 v4, v43, v41
	v_add_f32_e32 v59, v7, v54
	s_delay_alu instid0(VALU_DEP_2) | instskip(NEXT) | instid1(VALU_DEP_1)
	v_fma_f32 v4, -0.5, v4, v21
	v_fmamk_f32 v49, v62, 0x3f737871, v4
	v_fmac_f32_e32 v4, 0xbf737871, v62
	s_delay_alu instid0(VALU_DEP_2) | instskip(NEXT) | instid1(VALU_DEP_2)
	v_fmac_f32_e32 v49, 0x3f167918, v47
	v_fmac_f32_e32 v4, 0xbf167918, v47
	;; [unrolled: 1-line block ×3, first 2 shown]
	v_mul_f32_e32 v19, 0x3e9e377a, v66
	s_delay_alu instid0(VALU_DEP_1) | instskip(NEXT) | instid1(VALU_DEP_1)
	v_fmac_f32_e32 v19, 0x3f737871, v15
	v_add_f32_e32 v58, v51, v19
	v_sub_f32_e32 v74, v51, v19
	v_add_f32_e32 v19, v55, v43
	v_sub_f32_e32 v51, v45, v41
	s_delay_alu instid0(VALU_DEP_1) | instskip(SKIP_1) | instid1(VALU_DEP_2)
	v_dual_add_f32 v19, v19, v41 :: v_dual_add_f32 v48, v48, v51
	v_add_f32_e32 v51, v35, v39
	v_dual_add_f32 v50, v45, v19 :: v_dual_sub_f32 v75, v7, v54
	v_add_f32_e32 v7, v33, v45
	v_sub_f32_e32 v19, v41, v45
	v_fmac_f32_e32 v49, 0x3e9e377a, v48
	v_fmac_f32_e32 v4, 0x3e9e377a, v48
	s_delay_alu instid0(VALU_DEP_4) | instskip(SKIP_1) | instid1(VALU_DEP_2)
	v_dual_add_f32 v48, v31, v37 :: v_dual_fmac_f32 v21, -0.5, v7
	v_sub_f32_e32 v7, v43, v33
	v_fmamk_f32 v54, v47, 0xbf737871, v21
	v_fmac_f32_e32 v21, 0x3f737871, v47
	v_add_f32_e32 v47, v29, v31
	s_delay_alu instid0(VALU_DEP_4)
	v_add_f32_e32 v19, v7, v19
	v_fma_f32 v7, -0.5, v51, v29
	v_fmac_f32_e32 v54, 0x3f167918, v62
	v_fmac_f32_e32 v21, 0xbf167918, v62
	v_add_f32_e32 v47, v47, v39
	v_dual_sub_f32 v51, v32, v38 :: v_dual_sub_f32 v62, v37, v35
	s_delay_alu instid0(VALU_DEP_4) | instskip(NEXT) | instid1(VALU_DEP_4)
	v_fmac_f32_e32 v54, 0x3e9e377a, v19
	v_fmac_f32_e32 v21, 0x3e9e377a, v19
	s_delay_alu instid0(VALU_DEP_4) | instskip(NEXT) | instid1(VALU_DEP_4)
	v_add_f32_e32 v47, v35, v47
	v_fmamk_f32 v19, v51, 0x3f737871, v7
	v_fmac_f32_e32 v7, 0xbf737871, v51
	v_dual_fmac_f32 v29, -0.5, v48 :: v_dual_sub_f32 v48, v39, v31
	s_delay_alu instid0(VALU_DEP_4)
	v_add_f32_e32 v55, v37, v47
	v_add_f32_e32 v47, v62, v53
	v_sub_f32_e32 v53, v35, v37
	v_fmac_f32_e32 v19, 0x3f167918, v52
	v_fmac_f32_e32 v7, 0xbf167918, v52
	v_sub_f32_e32 v35, v39, v35
	s_delay_alu instid0(VALU_DEP_4)
	v_dual_fmamk_f32 v67, v52, 0xbf737871, v29 :: v_dual_add_f32 v48, v53, v48
	v_add_f32_e32 v53, v32, v38
	v_fmac_f32_e32 v19, 0x3e9e377a, v47
	v_fmac_f32_e32 v7, 0x3e9e377a, v47
	v_add_f32_e32 v47, v36, v40
	v_dual_fmac_f32 v29, 0x3f737871, v52 :: v_dual_sub_f32 v52, v50, v55
	v_fma_f32 v71, -0.5, v53, v30
	v_sub_f32_e32 v31, v31, v37
	s_delay_alu instid0(VALU_DEP_4) | instskip(SKIP_1) | instid1(VALU_DEP_4)
	v_fma_f32 v69, -0.5, v47, v30
	v_sub_f32_e32 v39, v40, v32
	v_dual_sub_f32 v47, v36, v38 :: v_dual_fmamk_f32 v70, v35, 0x3f737871, v71
	v_fmac_f32_e32 v67, 0x3f167918, v51
	v_fmac_f32_e32 v29, 0xbf167918, v51
	v_dual_fmamk_f32 v68, v31, 0xbf737871, v69 :: v_dual_sub_f32 v37, v32, v40
	v_sub_f32_e32 v51, v38, v36
	v_fmac_f32_e32 v69, 0x3f737871, v31
	v_fmac_f32_e32 v70, 0xbf167918, v31
	;; [unrolled: 1-line block ×3, first 2 shown]
	v_add_f32_e32 v39, v47, v39
	v_dual_fmac_f32 v68, 0xbf167918, v35 :: v_dual_add_f32 v37, v51, v37
	v_fmac_f32_e32 v69, 0x3f167918, v35
	s_delay_alu instid0(VALU_DEP_4) | instskip(NEXT) | instid1(VALU_DEP_4)
	v_fmac_f32_e32 v71, 0x3f167918, v31
	v_dual_fmac_f32 v70, 0x3e9e377a, v39 :: v_dual_fmac_f32 v29, 0x3e9e377a, v48
	s_delay_alu instid0(VALU_DEP_4) | instskip(NEXT) | instid1(VALU_DEP_4)
	v_dual_fmac_f32 v67, 0x3e9e377a, v48 :: v_dual_fmac_f32 v68, 0x3e9e377a, v37
	v_fmac_f32_e32 v69, 0x3e9e377a, v37
	s_delay_alu instid0(VALU_DEP_4) | instskip(NEXT) | instid1(VALU_DEP_4)
	v_fmac_f32_e32 v71, 0x3e9e377a, v39
	v_mul_f32_e32 v62, 0x3f737871, v70
	v_mul_f32_e32 v31, 0x3e9e377a, v29
	;; [unrolled: 1-line block ×4, first 2 shown]
	v_mul_u32_u24_e32 v47, 10, v3
	v_fmac_f32_e32 v62, 0x3e9e377a, v67
	v_fma_f32 v35, 0x3f737871, v71, -v31
	v_fma_f32 v39, 0x3f167918, v69, -v39
	v_fmac_f32_e32 v37, 0x3f167918, v68
	v_lshl_add_u32 v31, v47, 2, 0
	s_delay_alu instid0(VALU_DEP_4) | instskip(NEXT) | instid1(VALU_DEP_4)
	v_dual_add_f32 v47, v54, v62 :: v_dual_add_f32 v48, v21, v35
	v_add_f32_e32 v51, v4, v39
	s_delay_alu instid0(VALU_DEP_4) | instskip(NEXT) | instid1(VALU_DEP_4)
	v_sub_f32_e32 v53, v49, v37
	v_lshl_add_u32 v72, v0, 2, v31
	v_sub_f32_e32 v54, v54, v62
	ds_store_2addr_b64 v72, v[56:57], v[58:59] offset1:1
	ds_store_2addr_b64 v72, v[60:61], v[73:74] offset0:2 offset1:3
	ds_store_b64 v72, v[75:76] offset:32
	s_and_saveexec_b32 s0, s1
	s_cbranch_execz .LBB0_17
; %bb.16:
	v_sub_f32_e32 v56, v4, v39
	v_add_nc_u32_e32 v4, 0x12d0, v72
	v_dual_add_f32 v58, v49, v37 :: v_dual_add_f32 v57, v50, v55
	v_add_nc_u32_e32 v37, 0x12c0, v72
	v_sub_f32_e32 v55, v21, v35
	ds_store_2addr_b64 v4, v[51:52], v[53:54] offset1:1
	ds_store_2addr_b64 v37, v[57:58], v[47:48] offset1:1
	ds_store_b64 v72, v[55:56] offset:4832
.LBB0_17:
	s_wait_alu 0xfffe
	s_or_b32 exec_lo, exec_lo, s0
	v_lshlrev_b32_e32 v4, 2, v0
	v_mul_i32_i24_e32 v0, 0xffffffdc, v3
	v_lshlrev_b32_e32 v35, 2, v3
	global_wb scope:SCOPE_SE
	s_wait_dscnt 0x0
	s_wait_kmcnt 0x0
	s_barrier_signal -1
	s_barrier_wait -1
	v_add3_u32 v0, v31, v0, v4
	global_inv scope:SCOPE_SE
	v_add3_u32 v31, 0, v4, v35
	v_cmp_gt_u32_e64 s0, 0x50, v3
	v_add_nc_u32_e32 v21, 0x180, v0
	v_add_nc_u32_e32 v37, 0x680, v0
	;; [unrolled: 1-line block ×5, first 2 shown]
	ds_load_2addr_b32 v[49:50], v21 offset0:24 offset1:224
	ds_load_2addr_b32 v[61:62], v37 offset0:24 offset1:224
	ds_load_2addr_b32 v[59:60], v39 offset0:24 offset1:224
	ds_load_2addr_b32 v[57:58], v55 offset0:24 offset1:224
	ds_load_2addr_b32 v[55:56], v56 offset0:24 offset1:224
	ds_load_b32 v37, v31
	ds_load_b32 v39, v0 offset:6880
	s_and_saveexec_b32 s4, s0
	s_cbranch_execz .LBB0_19
; %bb.18:
	v_add_nc_u32_e32 v21, 0xc0, v0
	ds_load_2addr_stride64_b32 v[47:48], v21 offset0:3 offset1:8
	ds_load_2addr_stride64_b32 v[51:52], v21 offset0:13 offset1:18
	;; [unrolled: 1-line block ×3, first 2 shown]
.LBB0_19:
	s_wait_alu 0xfffe
	s_or_b32 exec_lo, exec_lo, s4
	v_sub_f32_e32 v13, v13, v23
	v_dual_sub_f32 v23, v27, v25 :: v_dual_add_f32 v10, v10, v12
	v_add_f32_e32 v27, v14, v24
	v_add_f32_e32 v73, v8, v14
	;; [unrolled: 1-line block ×3, first 2 shown]
	v_dual_sub_f32 v25, v14, v28 :: v_dual_sub_f32 v14, v28, v14
	global_wb scope:SCOPE_SE
	s_wait_dscnt 0x0
	v_add_f32_e32 v28, v73, v28
	v_fma_f32 v74, -0.5, v21, v8
	v_dual_fmac_f32 v8, -0.5, v27 :: v_dual_sub_f32 v21, v24, v26
	v_add_f32_e32 v10, v10, v20
	s_barrier_signal -1
	s_delay_alu instid0(VALU_DEP_3) | instskip(SKIP_4) | instid1(VALU_DEP_4)
	v_fmamk_f32 v73, v13, 0xbf737871, v74
	v_fmac_f32_e32 v74, 0x3f737871, v13
	v_dual_fmamk_f32 v12, v23, 0x3f737871, v8 :: v_dual_sub_f32 v75, v26, v24
	v_fmac_f32_e32 v8, 0xbf737871, v23
	v_add_f32_e32 v10, v10, v18
	v_dual_fmac_f32 v74, 0x3f167918, v23 :: v_dual_add_f32 v21, v25, v21
	s_delay_alu instid0(VALU_DEP_4) | instskip(SKIP_3) | instid1(VALU_DEP_4)
	v_dual_add_f32 v14, v14, v75 :: v_dual_add_f32 v25, v28, v26
	v_dual_fmac_f32 v12, 0xbf167918, v13 :: v_dual_fmac_f32 v73, 0xbf167918, v23
	v_fmac_f32_e32 v8, 0x3f167918, v13
	v_add_f32_e32 v10, v10, v16
	v_add_f32_e32 v24, v25, v24
	v_mul_f32_e32 v13, 0xbf167918, v64
	v_fmac_f32_e32 v73, 0x3e9e377a, v21
	v_mul_f32_e32 v16, 0x3f4f1bbd, v65
	s_delay_alu instid0(VALU_DEP_4) | instskip(NEXT) | instid1(VALU_DEP_4)
	v_dual_mul_f32 v23, 0xbf737871, v67 :: v_dual_add_f32 v20, v24, v10
	v_fmac_f32_e32 v13, 0x3f4f1bbd, v11
	v_mul_f32_e32 v11, 0xbf737871, v66
	v_fmac_f32_e32 v74, 0x3e9e377a, v21
	v_fmac_f32_e32 v12, 0x3e9e377a, v14
	s_barrier_wait -1
	v_add_f32_e32 v21, v73, v13
	v_dual_fmac_f32 v11, 0x3e9e377a, v15 :: v_dual_fmac_f32 v8, 0x3e9e377a, v14
	v_fma_f32 v15, 0xbf167918, v63, -v16
	v_mul_f32_e32 v14, 0x3e9e377a, v17
	v_dual_add_f32 v16, v44, v42 :: v_dual_sub_f32 v63, v73, v13
	s_delay_alu instid0(VALU_DEP_4) | instskip(NEXT) | instid1(VALU_DEP_4)
	v_add_f32_e32 v25, v12, v11
	v_add_f32_e32 v27, v74, v15
	s_delay_alu instid0(VALU_DEP_4)
	v_fma_f32 v14, 0xbf737871, v9, -v14
	v_add_f32_e32 v9, v22, v34
	v_dual_sub_f32 v13, v43, v41 :: v_dual_sub_f32 v66, v74, v15
	global_inv scope:SCOPE_SE
	v_dual_add_f32 v26, v8, v14 :: v_dual_add_f32 v17, v9, v44
	v_fma_f32 v9, -0.5, v16, v22
	v_sub_f32_e32 v16, v33, v45
	v_sub_f32_e32 v64, v12, v11
	v_add_f32_e32 v12, v34, v46
	v_add_f32_e32 v11, v17, v42
	v_sub_f32_e32 v28, v24, v10
	v_fmamk_f32 v10, v16, 0xbf737871, v9
	v_sub_f32_e32 v65, v8, v14
	v_fmac_f32_e32 v9, 0x3f737871, v16
	v_add_f32_e32 v15, v46, v11
	v_sub_f32_e32 v8, v34, v44
	v_dual_sub_f32 v11, v46, v42 :: v_dual_fmac_f32 v22, -0.5, v12
	v_sub_f32_e32 v17, v42, v46
	v_fmac_f32_e32 v9, 0x3f167918, v13
	s_delay_alu instid0(VALU_DEP_3)
	v_dual_fmac_f32 v23, 0x3e9e377a, v70 :: v_dual_add_f32 v8, v8, v11
	v_sub_f32_e32 v12, v44, v34
	v_fmac_f32_e32 v10, 0xbf167918, v13
	v_add_nc_u32_e32 v24, 0x78, v3
	ds_store_2addr_b64 v72, v[20:21], v[25:26] offset1:1
	ds_store_2addr_b64 v72, v[27:28], v[63:64] offset0:2 offset1:3
	ds_store_b64 v72, v[65:66] offset:32
	v_fmac_f32_e32 v9, 0x3e9e377a, v8
	v_dual_fmamk_f32 v14, v13, 0x3f737871, v22 :: v_dual_add_f32 v11, v12, v17
	v_add_f32_e32 v12, v30, v32
	v_fmac_f32_e32 v10, 0x3e9e377a, v8
	s_delay_alu instid0(VALU_DEP_2) | instskip(SKIP_1) | instid1(VALU_DEP_2)
	v_add_f32_e32 v8, v12, v40
	v_mul_f32_e32 v12, 0x3f4f1bbd, v69
	v_add_f32_e32 v8, v36, v8
	s_delay_alu instid0(VALU_DEP_2) | instskip(SKIP_1) | instid1(VALU_DEP_1)
	v_fma_f32 v18, 0xbf167918, v7, -v12
	v_fmac_f32_e32 v14, 0xbf167918, v16
	v_fmac_f32_e32 v14, 0x3e9e377a, v11
	s_delay_alu instid0(VALU_DEP_1) | instskip(NEXT) | instid1(VALU_DEP_1)
	v_dual_fmac_f32 v22, 0xbf737871, v13 :: v_dual_add_f32 v7, v14, v23
	v_fmac_f32_e32 v22, 0x3f167918, v16
	v_dual_mul_f32 v16, 0xbf167918, v19 :: v_dual_add_f32 v19, v38, v8
	s_delay_alu instid0(VALU_DEP_2) | instskip(SKIP_1) | instid1(VALU_DEP_3)
	v_fmac_f32_e32 v22, 0x3e9e377a, v11
	v_mul_f32_e32 v11, 0x3e9e377a, v71
	v_fmac_f32_e32 v16, 0x3f4f1bbd, v68
	s_delay_alu instid0(VALU_DEP_4) | instskip(NEXT) | instid1(VALU_DEP_3)
	v_sub_f32_e32 v12, v15, v19
	v_fma_f32 v17, 0xbf737871, v29, -v11
	v_add_f32_e32 v11, v9, v18
	s_delay_alu instid0(VALU_DEP_4) | instskip(SKIP_1) | instid1(VALU_DEP_4)
	v_sub_f32_e32 v13, v10, v16
	v_sub_f32_e32 v14, v14, v23
	v_add_f32_e32 v8, v22, v17
	s_and_saveexec_b32 s4, s1
	s_cbranch_execz .LBB0_21
; %bb.20:
	v_mul_u32_u24_e32 v20, 10, v24
	v_add_f32_e32 v16, v10, v16
	v_dual_sub_f32 v17, v22, v17 :: v_dual_sub_f32 v18, v9, v18
	s_delay_alu instid0(VALU_DEP_3) | instskip(NEXT) | instid1(VALU_DEP_1)
	v_dual_add_f32 v15, v15, v19 :: v_dual_lshlrev_b32 v20, 2, v20
	v_add3_u32 v10, 0, v20, v4
	ds_store_2addr_b64 v10, v[15:16], v[7:8] offset1:1
	ds_store_2addr_b64 v10, v[11:12], v[13:14] offset0:2 offset1:3
	ds_store_b64 v10, v[17:18] offset:32
.LBB0_21:
	s_wait_alu 0xfffe
	s_or_b32 exec_lo, exec_lo, s4
	v_add_nc_u32_e32 v9, 0x180, v0
	v_add_nc_u32_e32 v15, 0x680, v0
	;; [unrolled: 1-line block ×5, first 2 shown]
	global_wb scope:SCOPE_SE
	s_wait_dscnt 0x0
	s_barrier_signal -1
	s_barrier_wait -1
	global_inv scope:SCOPE_SE
	ds_load_2addr_b32 v[9:10], v9 offset0:24 offset1:224
	ds_load_2addr_b32 v[21:22], v15 offset0:24 offset1:224
	;; [unrolled: 1-line block ×5, first 2 shown]
	ds_load_b32 v32, v31
	ds_load_b32 v23, v0 offset:6880
	s_and_saveexec_b32 s1, s0
	s_cbranch_execz .LBB0_23
; %bb.22:
	v_add_nc_u32_e32 v13, 0xc0, v0
	ds_load_2addr_stride64_b32 v[7:8], v13 offset0:3 offset1:8
	ds_load_2addr_stride64_b32 v[11:12], v13 offset0:13 offset1:18
	;; [unrolled: 1-line block ×3, first 2 shown]
.LBB0_23:
	s_wait_alu 0xfffe
	s_or_b32 exec_lo, exec_lo, s1
	v_and_b32_e32 v25, 0xff, v3
	v_and_b32_e32 v26, 0xff, v24
	s_delay_alu instid0(VALU_DEP_2) | instskip(NEXT) | instid1(VALU_DEP_2)
	v_mul_lo_u16 v25, 0xcd, v25
	v_mul_lo_u16 v26, 0xcd, v26
	s_delay_alu instid0(VALU_DEP_2) | instskip(NEXT) | instid1(VALU_DEP_2)
	v_lshrrev_b16 v25, 11, v25
	v_lshrrev_b16 v26, 11, v26
	s_delay_alu instid0(VALU_DEP_2) | instskip(NEXT) | instid1(VALU_DEP_2)
	v_mul_lo_u16 v27, v25, 10
	v_mul_lo_u16 v28, v26, 10
	s_delay_alu instid0(VALU_DEP_2) | instskip(NEXT) | instid1(VALU_DEP_2)
	v_sub_nc_u16 v27, v3, v27
	v_sub_nc_u16 v24, v24, v28
	s_delay_alu instid0(VALU_DEP_2) | instskip(NEXT) | instid1(VALU_DEP_1)
	v_and_b32_e32 v27, 0xff, v27
	v_mul_u32_u24_e32 v28, 5, v27
	s_delay_alu instid0(VALU_DEP_1)
	v_lshlrev_b32_e32 v28, 3, v28
	s_clause 0x1
	global_load_b128 v[43:46], v28, s[8:9]
	global_load_b128 v[64:67], v28, s[8:9] offset:16
	v_and_b32_e32 v24, 0xff, v24
	global_load_b64 v[84:85], v28, s[8:9] offset:32
	v_add_nc_u32_e32 v29, 0xf0, v3
	v_and_b32_e32 v26, 0xffff, v26
	v_mul_u32_u24_e32 v33, 5, v24
	s_delay_alu instid0(VALU_DEP_1)
	v_lshlrev_b32_e32 v33, 3, v33
	s_clause 0x2
	global_load_b128 v[68:71], v33, s[8:9]
	global_load_b128 v[72:75], v33, s[8:9] offset:16
	global_load_b64 v[86:87], v33, s[8:9] offset:32
	s_wait_loadcnt_dscnt 0x506
	v_mul_f32_e32 v36, v10, v44
	v_mul_f32_e32 v33, v50, v44
	s_wait_dscnt 0x5
	v_mul_f32_e32 v44, v22, v46
	s_wait_loadcnt_dscnt 0x404
	v_dual_mul_f32 v63, v62, v46 :: v_dual_mul_f32 v46, v20, v65
	v_and_b32_e32 v30, 0xffff, v29
	v_mad_u32_u24 v26, 0xf0, v26, 0
	v_dual_mul_f32 v34, v60, v65 :: v_dual_lshlrev_b32 v27, 2, v27
	s_wait_dscnt 0x3
	v_mul_f32_e32 v65, v18, v67
	v_mul_u32_u24_e32 v30, 0xcccd, v30
	v_lshlrev_b32_e32 v24, 2, v24
	v_dual_fmac_f32 v34, v20, v64 :: v_dual_and_b32 v25, 0xffff, v25
	v_fma_f32 v60, v60, v64, -v46
	s_delay_alu instid0(VALU_DEP_4) | instskip(NEXT) | instid1(VALU_DEP_4)
	v_lshrrev_b32_e32 v28, 19, v30
	v_add3_u32 v41, v26, v24, v4
	s_delay_alu instid0(VALU_DEP_4)
	v_mad_u32_u24 v25, 0xf0, v25, 0
	s_wait_loadcnt 0x2
	v_mul_f32_e32 v24, v61, v69
	v_fma_f32 v36, v50, v43, -v36
	v_mul_lo_u16 v30, v28, 10
	v_mul_lo_u16 v40, v28, 60
	v_add3_u32 v42, v25, v27, v4
	s_wait_loadcnt 0x1
	v_dual_mul_f32 v28, v59, v71 :: v_dual_mul_f32 v27, v57, v73
	v_sub_nc_u16 v29, v29, v30
	v_mul_f32_e32 v26, v55, v75
	s_delay_alu instid0(VALU_DEP_3) | instskip(SKIP_2) | instid1(VALU_DEP_3)
	v_dual_fmac_f32 v33, v10, v43 :: v_dual_fmac_f32 v28, v19, v70
	v_fma_f32 v62, v62, v45, -v44
	s_wait_dscnt 0x2
	v_dual_fmac_f32 v26, v15, v74 :: v_dual_and_b32 v29, 0xffff, v29
	s_delay_alu instid0(VALU_DEP_1) | instskip(SKIP_2) | instid1(VALU_DEP_3)
	v_mul_u32_u24_e32 v30, 5, v29
	v_lshl_add_u32 v38, v29, 2, 0
	v_mul_f32_e32 v29, v58, v67
	v_dual_mul_f32 v67, v16, v85 :: v_dual_lshlrev_b32 v30, 3, v30
	s_clause 0x2
	global_load_b128 v[76:79], v30, s[8:9]
	global_load_b128 v[80:83], v30, s[8:9] offset:16
	global_load_b64 v[88:89], v30, s[8:9] offset:32
	v_mul_f32_e32 v30, v56, v85
	v_mul_f32_e32 v85, v21, v69
	v_mul_f32_e32 v69, v19, v71
	v_mul_f32_e32 v71, v17, v73
	s_delay_alu instid0(VALU_DEP_4)
	v_dual_mul_f32 v73, v15, v75 :: v_dual_fmac_f32 v30, v16, v84
	s_wait_loadcnt_dscnt 0x300
	v_mul_f32_e32 v75, v23, v87
	v_dual_mul_f32 v25, v39, v87 :: v_dual_fmac_f32 v24, v21, v68
	v_fmac_f32_e32 v29, v18, v66
	v_fma_f32 v18, v56, v84, -v67
	v_fmac_f32_e32 v27, v17, v72
	v_fmac_f32_e32 v63, v22, v45
	v_fma_f32 v22, v58, v66, -v65
	v_fma_f32 v50, v61, v68, -v85
	v_fma_f32 v10, v59, v70, -v69
	v_fma_f32 v56, v57, v72, -v71
	v_fma_f32 v16, v55, v74, -v73
	v_fma_f32 v55, v39, v86, -v75
	global_wb scope:SCOPE_SE
	s_wait_loadcnt 0x0
	s_barrier_signal -1
	s_barrier_wait -1
	global_inv scope:SCOPE_SE
	v_add_f32_e32 v58, v56, v55
	v_dual_mul_f32 v44, v51, v79 :: v_dual_mul_f32 v15, v8, v77
	v_dual_mul_f32 v20, v54, v89 :: v_dual_fmac_f32 v25, v23, v86
	v_mul_f32_e32 v39, v48, v77
	v_mul_f32_e32 v19, v11, v79
	;; [unrolled: 1-line block ×3, first 2 shown]
	v_dual_mul_f32 v43, v52, v81 :: v_dual_mul_f32 v46, v13, v83
	v_mul_f32_e32 v21, v53, v83
	v_mul_f32_e32 v57, v14, v89
	v_fmac_f32_e32 v20, v14, v88
	v_add_f32_e32 v14, v60, v18
	v_fmac_f32_e32 v39, v8, v76
	v_fma_f32 v45, v51, v78, -v19
	v_fmac_f32_e32 v44, v11, v78
	v_fma_f32 v17, v48, v76, -v15
	v_fma_f32 v15, v54, v88, -v57
	v_add_f32_e32 v8, v37, v62
	v_add_f32_e32 v11, v62, v22
	;; [unrolled: 1-line block ×3, first 2 shown]
	v_fma_f32 v19, v52, v80, -v23
	v_sub_f32_e32 v51, v60, v18
	v_dual_add_f32 v52, v49, v10 :: v_dual_fmac_f32 v43, v12, v80
	v_dual_sub_f32 v12, v63, v29 :: v_dual_fmac_f32 v21, v13, v82
	v_sub_f32_e32 v23, v34, v30
	v_add_f32_e32 v57, v50, v56
	v_dual_add_f32 v13, v36, v60 :: v_dual_add_f32 v60, v27, v25
	v_fmac_f32_e32 v36, -0.5, v14
	v_fma_f32 v46, v53, v82, -v46
	v_dual_add_f32 v53, v10, v16 :: v_dual_fmac_f32 v50, -0.5, v58
	v_sub_f32_e32 v56, v56, v55
	v_fmac_f32_e32 v37, -0.5, v11
	v_dual_sub_f32 v58, v19, v15 :: v_dual_add_f32 v11, v13, v18
	v_fma_f32 v13, -0.5, v48, v33
	v_dual_add_f32 v48, v52, v16 :: v_dual_sub_f32 v59, v27, v25
	v_dual_add_f32 v61, v8, v22 :: v_dual_fmamk_f32 v18, v23, 0x3f5db3d7, v36
	v_fma_f32 v8, -0.5, v60, v24
	v_fmac_f32_e32 v36, 0xbf5db3d7, v23
	v_dual_sub_f32 v54, v28, v26 :: v_dual_fmac_f32 v49, -0.5, v53
	v_fmamk_f32 v60, v12, 0x3f5db3d7, v37
	v_dual_add_f32 v52, v57, v55 :: v_dual_fmac_f32 v37, 0xbf5db3d7, v12
	v_fmamk_f32 v14, v51, 0xbf5db3d7, v13
	v_fmac_f32_e32 v13, 0x3f5db3d7, v51
	v_add_f32_e32 v23, v61, v11
	v_dual_sub_f32 v61, v61, v11 :: v_dual_fmamk_f32 v12, v59, 0x3f5db3d7, v50
	v_fmac_f32_e32 v50, 0xbf5db3d7, v59
	v_dual_add_f32 v53, v19, v15 :: v_dual_fmamk_f32 v64, v54, 0x3f5db3d7, v49
	v_fmamk_f32 v11, v56, 0xbf5db3d7, v8
	v_mul_f32_e32 v59, -0.5, v36
	s_delay_alu instid0(VALU_DEP_4) | instskip(SKIP_1) | instid1(VALU_DEP_4)
	v_dual_sub_f32 v55, v43, v20 :: v_dual_mul_f32 v66, -0.5, v50
	v_fmac_f32_e32 v8, 0x3f5db3d7, v56
	v_dual_sub_f32 v56, v48, v52 :: v_dual_mul_f32 v65, 0x3f5db3d7, v11
	s_delay_alu instid0(VALU_DEP_4)
	v_fmac_f32_e32 v59, 0x3f5db3d7, v13
	v_dual_fmac_f32 v49, 0xbf5db3d7, v54 :: v_dual_add_f32 v54, v48, v52
	v_fma_f32 v48, -0.5, v53, v17
	v_add_f32_e32 v57, v43, v20
	v_fmac_f32_e32 v65, 0.5, v12
	v_fmac_f32_e32 v66, 0x3f5db3d7, v8
	s_delay_alu instid0(VALU_DEP_4) | instskip(SKIP_3) | instid1(VALU_DEP_2)
	v_fmamk_f32 v53, v55, 0x3f5db3d7, v48
	v_fmac_f32_e32 v48, 0xbf5db3d7, v55
	v_fma_f32 v52, -0.5, v57, v39
	v_mul_f32_e32 v57, 0x3f5db3d7, v14
	v_fmamk_f32 v51, v58, 0xbf5db3d7, v52
	s_delay_alu instid0(VALU_DEP_2) | instskip(NEXT) | instid1(VALU_DEP_1)
	v_fmac_f32_e32 v57, 0.5, v18
	v_dual_fmac_f32 v52, 0x3f5db3d7, v58 :: v_dual_add_f32 v55, v60, v57
	v_dual_sub_f32 v57, v60, v57 :: v_dual_add_f32 v60, v49, v66
	v_add_f32_e32 v58, v37, v59
	v_sub_f32_e32 v37, v37, v59
	v_add_f32_e32 v59, v64, v65
	v_dual_sub_f32 v64, v64, v65 :: v_dual_sub_f32 v49, v49, v66
	ds_store_2addr_b32 v42, v23, v55 offset1:10
	ds_store_2addr_b32 v42, v58, v61 offset0:20 offset1:30
	ds_store_2addr_b32 v42, v57, v37 offset0:40 offset1:50
	ds_store_2addr_b32 v41, v54, v59 offset1:10
	ds_store_2addr_b32 v41, v60, v56 offset0:20 offset1:30
	ds_store_2addr_b32 v41, v64, v49 offset0:40 offset1:50
	s_and_saveexec_b32 s1, s0
	s_cbranch_execz .LBB0_25
; %bb.24:
	v_dual_add_f32 v23, v45, v46 :: v_dual_mul_f32 v54, 0x3f5db3d7, v51
	v_mul_f32_e32 v49, -0.5, v48
	v_add_f32_e32 v55, v47, v45
	v_add_f32_e32 v17, v17, v19
	s_delay_alu instid0(VALU_DEP_4)
	v_fma_f32 v23, -0.5, v23, v47
	v_fmac_f32_e32 v54, 0.5, v53
	v_sub_f32_e32 v37, v44, v21
	v_and_b32_e32 v19, 0xffff, v40
	v_add_f32_e32 v55, v55, v46
	v_add_f32_e32 v15, v17, v15
	v_fmac_f32_e32 v49, 0x3f5db3d7, v52
	v_fmamk_f32 v47, v37, 0xbf5db3d7, v23
	v_fmac_f32_e32 v23, 0x3f5db3d7, v37
	v_lshlrev_b32_e32 v17, 2, v19
	v_sub_f32_e32 v37, v55, v15
	v_add_f32_e32 v15, v55, v15
	v_sub_f32_e32 v19, v47, v49
	v_add_f32_e32 v56, v23, v54
	v_add3_u32 v17, v38, v17, v4
	v_add_f32_e32 v47, v47, v49
	v_sub_f32_e32 v23, v23, v54
	ds_store_2addr_b32 v17, v15, v56 offset1:10
	ds_store_2addr_b32 v17, v47, v37 offset0:20 offset1:30
	ds_store_2addr_b32 v17, v23, v19 offset0:40 offset1:50
.LBB0_25:
	s_wait_alu 0xfffe
	s_or_b32 exec_lo, exec_lo, s1
	v_add_f32_e32 v15, v63, v29
	v_dual_add_f32 v17, v32, v63 :: v_dual_sub_f32 v10, v10, v16
	v_sub_f32_e32 v19, v62, v22
	v_add_f32_e32 v22, v33, v34
	s_delay_alu instid0(VALU_DEP_4) | instskip(NEXT) | instid1(VALU_DEP_4)
	v_dual_fmac_f32 v32, -0.5, v15 :: v_dual_mul_f32 v47, -0.5, v13
	v_add_f32_e32 v13, v17, v29
	v_add3_u32 v29, 0, v35, v4
	v_add_f32_e32 v17, v9, v28
	s_delay_alu instid0(VALU_DEP_4)
	v_fmamk_f32 v49, v19, 0xbf5db3d7, v32
	v_fmac_f32_e32 v32, 0x3f5db3d7, v19
	v_fmac_f32_e32 v47, 0xbf5db3d7, v36
	v_add_f32_e32 v15, v22, v30
	global_wb scope:SCOPE_SE
	s_wait_dscnt 0x0
	s_barrier_signal -1
	s_barrier_wait -1
	v_dual_add_f32 v56, v32, v47 :: v_dual_mul_f32 v37, 0xbf5db3d7, v18
	v_add_f32_e32 v54, v13, v15
	v_mul_f32_e32 v58, 0xbf5db3d7, v12
	v_add_nc_u32_e32 v30, 0xe00, v0
	global_inv scope:SCOPE_SE
	v_fmac_f32_e32 v37, 0.5, v14
	v_dual_add_f32 v14, v28, v26 :: v_dual_sub_f32 v57, v13, v15
	v_dual_add_f32 v13, v24, v27 :: v_dual_add_nc_u32 v28, 0x1200, v29
	s_delay_alu instid0(VALU_DEP_2) | instskip(NEXT) | instid1(VALU_DEP_2)
	v_dual_fmac_f32 v58, 0.5, v11 :: v_dual_fmac_f32 v9, -0.5, v14
	v_dual_mul_f32 v62, -0.5, v8 :: v_dual_add_f32 v61, v13, v25
	v_dual_add_f32 v59, v17, v26 :: v_dual_add_nc_u32 v8, 0x200, v29
	v_add_nc_u32_e32 v34, 0x1a00, v29
	s_delay_alu instid0(VALU_DEP_4)
	v_dual_fmamk_f32 v60, v10, 0xbf5db3d7, v9 :: v_dual_add_f32 v55, v49, v37
	v_add_nc_u32_e32 v26, 0x600, v29
	v_dual_fmac_f32 v9, 0x3f5db3d7, v10 :: v_dual_sub_f32 v32, v32, v47
	v_fmac_f32_e32 v62, 0xbf5db3d7, v50
	v_add_nc_u32_e32 v27, 0xa00, v29
	v_add_nc_u32_e32 v33, 0x1600, v29
	ds_load_b32 v35, v31
	ds_load_b32 v36, v0 offset:480
	ds_load_2addr_b32 v[24:25], v8 offset0:112 offset1:232
	ds_load_2addr_b32 v[18:19], v26 offset0:96 offset1:216
	v_sub_f32_e32 v37, v49, v37
	v_add_f32_e32 v49, v60, v58
	v_sub_f32_e32 v58, v60, v58
	v_add_f32_e32 v50, v9, v62
	ds_load_2addr_b32 v[22:23], v27 offset0:80 offset1:200
	ds_load_2addr_b32 v[16:17], v30 offset0:64 offset1:184
	;; [unrolled: 1-line block ×5, first 2 shown]
	v_add_f32_e32 v47, v59, v61
	v_sub_f32_e32 v59, v59, v61
	v_sub_f32_e32 v9, v9, v62
	global_wb scope:SCOPE_SE
	s_wait_dscnt 0x0
	s_barrier_signal -1
	s_barrier_wait -1
	global_inv scope:SCOPE_SE
	ds_store_2addr_b32 v42, v54, v55 offset1:10
	ds_store_2addr_b32 v42, v56, v57 offset0:20 offset1:30
	ds_store_2addr_b32 v42, v37, v32 offset0:40 offset1:50
	ds_store_2addr_b32 v41, v47, v49 offset1:10
	ds_store_2addr_b32 v41, v50, v59 offset0:20 offset1:30
	ds_store_2addr_b32 v41, v58, v9 offset0:40 offset1:50
	s_and_saveexec_b32 s1, s0
	s_cbranch_execz .LBB0_27
; %bb.26:
	v_dual_add_f32 v9, v44, v21 :: v_dual_add_f32 v32, v7, v44
	v_dual_sub_f32 v37, v45, v46 :: v_dual_and_b32 v40, 0xffff, v40
	s_delay_alu instid0(VALU_DEP_2) | instskip(SKIP_1) | instid1(VALU_DEP_2)
	v_fmac_f32_e32 v7, -0.5, v9
	v_add_f32_e32 v39, v39, v43
	v_dual_add_f32 v21, v32, v21 :: v_dual_fmamk_f32 v32, v37, 0xbf5db3d7, v7
	s_delay_alu instid0(VALU_DEP_2) | instskip(SKIP_2) | instid1(VALU_DEP_3)
	v_dual_add_f32 v20, v39, v20 :: v_dual_mul_f32 v9, 0xbf5db3d7, v53
	v_fmamk_f32 v7, v37, 0x3f5db3d7, v7
	v_lshlrev_b32_e32 v37, 2, v40
	v_add_f32_e32 v39, v21, v20
	s_delay_alu instid0(VALU_DEP_4) | instskip(SKIP_1) | instid1(VALU_DEP_4)
	v_dual_sub_f32 v20, v21, v20 :: v_dual_fmac_f32 v9, 0.5, v51
	v_mul_f32_e32 v41, -0.5, v52
	v_add3_u32 v21, v38, v37, v4
	s_delay_alu instid0(VALU_DEP_2) | instskip(NEXT) | instid1(VALU_DEP_1)
	v_dual_add_f32 v40, v32, v9 :: v_dual_fmac_f32 v41, 0xbf5db3d7, v48
	v_add_f32_e32 v42, v7, v41
	v_sub_f32_e32 v9, v32, v9
	v_sub_f32_e32 v7, v7, v41
	ds_store_2addr_b32 v21, v39, v40 offset1:10
	ds_store_2addr_b32 v21, v42, v20 offset0:20 offset1:30
	ds_store_2addr_b32 v21, v9, v7 offset0:40 offset1:50
.LBB0_27:
	s_wait_alu 0xfffe
	s_or_b32 exec_lo, exec_lo, s1
	v_subrev_nc_u32_e32 v7, 60, v3
	v_cmp_gt_u32_e64 s0, 60, v3
	v_mov_b32_e32 v21, 0
	global_wb scope:SCOPE_SE
	s_wait_dscnt 0x0
	s_barrier_signal -1
	s_barrier_wait -1
	s_wait_alu 0xf1ff
	v_cndmask_b32_e64 v7, v7, v3, s0
	global_inv scope:SCOPE_SE
	v_mul_i32_i24_e32 v20, 15, v7
	s_delay_alu instid0(VALU_DEP_1) | instskip(NEXT) | instid1(VALU_DEP_1)
	v_lshlrev_b64_e32 v[37:38], 3, v[20:21]
	v_add_co_u32 v65, s0, s8, v37
	s_wait_alu 0xf1ff
	s_delay_alu instid0(VALU_DEP_2)
	v_add_co_ci_u32_e64 v66, s0, s9, v38, s0
	v_cmp_lt_u32_e64 s0, 59, v3
	s_clause 0x7
	global_load_b128 v[37:40], v[65:66], off offset:400
	global_load_b128 v[41:44], v[65:66], off offset:416
	;; [unrolled: 1-line block ×7, first 2 shown]
	global_load_b64 v[65:66], v[65:66], off offset:512
	s_wait_alu 0xf1ff
	v_cndmask_b32_e64 v9, 0, 0x3c0, s0
	s_delay_alu instid0(VALU_DEP_1)
	v_or_b32_e32 v7, v9, v7
	ds_load_b32 v9, v0 offset:480
	ds_load_b32 v20, v31
	ds_load_2addr_b32 v[67:68], v8 offset0:112 offset1:232
	ds_load_2addr_b32 v[69:70], v26 offset0:96 offset1:216
	;; [unrolled: 1-line block ×7, first 2 shown]
	global_wb scope:SCOPE_SE
	s_wait_loadcnt_dscnt 0x0
	v_lshlrev_b32_e32 v7, 2, v7
	s_barrier_signal -1
	s_barrier_wait -1
	global_inv scope:SCOPE_SE
	v_mul_f32_e32 v32, v36, v38
	v_add3_u32 v4, 0, v7, v4
	v_mul_f32_e32 v88, v69, v44
	v_dual_mul_f32 v44, v18, v44 :: v_dual_mul_f32 v7, v9, v38
	v_dual_mul_f32 v38, v67, v40 :: v_dual_mul_f32 v89, v70, v46
	s_delay_alu instid0(VALU_DEP_4)
	v_add_nc_u32_e32 v84, 0x800, v4
	v_add_nc_u32_e32 v81, 0x200, v4
	v_dual_fmac_f32 v32, v9, v37 :: v_dual_add_nc_u32 v85, 0xa00, v4
	v_dual_mul_f32 v87, v68, v42 :: v_dual_add_nc_u32 v86, 0xc00, v4
	v_mul_f32_e32 v42, v25, v42
	v_fma_f32 v7, v36, v37, -v7
	v_dual_mul_f32 v36, v71, v48 :: v_dual_mul_f32 v37, v72, v50
	v_mul_f32_e32 v40, v24, v40
	v_mul_f32_e32 v9, v22, v48
	v_fma_f32 v24, v24, v39, -v38
	v_mul_f32_e32 v38, v23, v50
	v_fma_f32 v25, v25, v41, -v87
	v_mul_f32_e32 v50, v74, v54
	v_dual_fmac_f32 v42, v68, v41 :: v_dual_mul_f32 v41, v75, v56
	v_fma_f32 v22, v22, v47, -v36
	v_fma_f32 v23, v23, v49, -v37
	v_dual_mul_f32 v36, v80, v66 :: v_dual_add_nc_u32 v83, 0x600, v4
	v_mul_f32_e32 v46, v19, v46
	v_dual_fmac_f32 v40, v67, v39 :: v_dual_mul_f32 v39, v73, v52
	v_dual_mul_f32 v48, v16, v52 :: v_dual_fmac_f32 v9, v71, v47
	v_mul_f32_e32 v52, v17, v54
	v_mul_f32_e32 v67, v78, v62
	;; [unrolled: 1-line block ×3, first 2 shown]
	v_fma_f32 v17, v17, v53, -v50
	v_mul_f32_e32 v54, v14, v56
	v_fma_f32 v14, v14, v55, -v41
	v_fma_f32 v11, v11, v65, -v36
	;; [unrolled: 1-line block ×3, first 2 shown]
	v_sub_f32_e32 v17, v7, v17
	v_fma_f32 v19, v19, v45, -v89
	v_dual_fmac_f32 v46, v70, v45 :: v_dual_mul_f32 v45, v79, v64
	v_sub_f32_e32 v14, v24, v14
	v_fmac_f32_e32 v54, v75, v55
	v_dual_fmac_f32 v44, v69, v43 :: v_dual_mul_f32 v43, v76, v58
	v_dual_sub_f32 v11, v23, v11 :: v_dual_fmac_f32 v52, v74, v53
	v_mul_f32_e32 v62, v13, v62
	v_fma_f32 v13, v13, v61, -v67
	v_fma_f32 v16, v16, v51, -v39
	v_sub_f32_e32 v39, v40, v54
	v_mul_f32_e32 v56, v15, v58
	s_delay_alu instid0(VALU_DEP_4)
	v_dual_mul_f32 v58, v77, v60 :: v_dual_sub_f32 v13, v19, v13
	v_fma_f32 v15, v15, v57, -v43
	v_mul_f32_e32 v64, v10, v64
	v_fma_f32 v7, v7, 2.0, -v17
	v_sub_f32_e32 v43, v32, v52
	v_fma_f32 v19, v19, 2.0, -v13
	v_sub_f32_e32 v15, v25, v15
	v_fmac_f32_e32 v64, v79, v63
	v_fmac_f32_e32 v62, v78, v61
	s_delay_alu instid0(VALU_DEP_4) | instskip(SKIP_1) | instid1(VALU_DEP_4)
	v_dual_fmac_f32 v38, v72, v49 :: v_dual_sub_f32 v19, v7, v19
	v_fma_f32 v10, v10, v63, -v45
	v_sub_f32_e32 v41, v9, v64
	s_delay_alu instid0(VALU_DEP_4) | instskip(SKIP_3) | instid1(VALU_DEP_4)
	v_dual_mul_f32 v60, v12, v60 :: v_dual_sub_f32 v45, v46, v62
	v_fmac_f32_e32 v47, v80, v65
	v_add_f32_e32 v13, v43, v13
	v_fma_f32 v40, v40, 2.0, -v39
	v_fmac_f32_e32 v60, v77, v59
	v_fma_f32 v9, v9, 2.0, -v41
	v_dual_sub_f32 v47, v38, v47 :: v_dual_sub_f32 v16, v35, v16
	v_fma_f32 v46, v46, 2.0, -v45
	s_delay_alu instid0(VALU_DEP_4) | instskip(NEXT) | instid1(VALU_DEP_4)
	v_sub_f32_e32 v37, v44, v60
	v_sub_f32_e32 v9, v40, v9
	v_fmac_f32_e32 v56, v76, v57
	v_fma_f32 v38, v38, 2.0, -v47
	v_sub_f32_e32 v45, v17, v45
	v_sub_f32_e32 v47, v15, v47
	v_fmac_f32_e32 v48, v73, v51
	v_fma_f32 v12, v12, v59, -v58
	v_fma_f32 v44, v44, 2.0, -v37
	v_sub_f32_e32 v37, v16, v37
	v_fmamk_f32 v51, v47, 0x3f3504f3, v45
	v_sub_f32_e32 v41, v14, v41
	v_sub_f32_e32 v12, v18, v12
	v_fma_f32 v25, v25, 2.0, -v15
	v_fma_f32 v23, v23, 2.0, -v11
	s_delay_alu instid0(VALU_DEP_4)
	v_dual_sub_f32 v36, v20, v48 :: v_dual_fmamk_f32 v49, v41, 0x3f3504f3, v37
	v_sub_f32_e32 v48, v42, v56
	v_fma_f32 v35, v35, 2.0, -v16
	v_fma_f32 v18, v18, 2.0, -v12
	;; [unrolled: 1-line block ×4, first 2 shown]
	v_add_f32_e32 v11, v48, v11
	v_fma_f32 v42, v42, 2.0, -v48
	v_fma_f32 v16, v16, 2.0, -v37
	v_fma_f32 v14, v14, 2.0, -v41
	v_fma_f32 v43, v43, 2.0, -v13
	v_fma_f32 v48, v48, 2.0, -v11
	v_dual_sub_f32 v10, v22, v10 :: v_dual_sub_f32 v23, v25, v23
	v_fma_f32 v20, v20, 2.0, -v36
	v_dual_add_f32 v12, v36, v12 :: v_dual_fmamk_f32 v53, v14, 0xbf3504f3, v16
	s_delay_alu instid0(VALU_DEP_3) | instskip(SKIP_4) | instid1(VALU_DEP_4)
	v_fma_f32 v22, v22, 2.0, -v10
	v_sub_f32_e32 v46, v32, v46
	v_sub_f32_e32 v18, v35, v18
	v_dual_sub_f32 v44, v20, v44 :: v_dual_fmac_f32 v51, 0xbf3504f3, v11
	v_fma_f32 v25, v25, 2.0, -v23
	v_dual_add_f32 v23, v46, v23 :: v_dual_add_f32 v10, v39, v10
	s_delay_alu instid0(VALU_DEP_4)
	v_fma_f32 v35, v35, 2.0, -v18
	v_sub_f32_e32 v22, v24, v22
	v_fma_f32 v20, v20, 2.0, -v44
	v_fma_f32 v40, v40, 2.0, -v9
	;; [unrolled: 1-line block ×3, first 2 shown]
	v_sub_f32_e32 v38, v42, v38
	v_fma_f32 v24, v24, 2.0, -v22
	v_sub_f32_e32 v9, v18, v9
	v_fma_f32 v39, v39, 2.0, -v10
	;; [unrolled: 2-line block ×3, first 2 shown]
	v_fmamk_f32 v52, v11, 0x3f3504f3, v13
	v_fma_f32 v42, v42, 2.0, -v38
	v_fmac_f32_e32 v49, 0xbf3504f3, v10
	v_sub_f32_e32 v11, v35, v24
	v_dual_sub_f32 v24, v20, v40 :: v_dual_fmac_f32 v53, 0xbf3504f3, v39
	v_fma_f32 v32, v32, 2.0, -v46
	v_fmamk_f32 v50, v10, 0x3f3504f3, v12
	v_fma_f32 v17, v17, 2.0, -v45
	v_fma_f32 v15, v15, 2.0, -v47
	;; [unrolled: 1-line block ×4, first 2 shown]
	v_sub_f32_e32 v38, v19, v38
	v_fmamk_f32 v45, v51, 0x3f6c835e, v49
	v_fma_f32 v20, v20, 2.0, -v24
	v_dual_fmamk_f32 v54, v39, 0xbf3504f3, v36 :: v_dual_sub_f32 v39, v32, v42
	v_fmac_f32_e32 v50, 0x3f3504f3, v41
	v_fmamk_f32 v41, v48, 0xbf3504f3, v43
	v_add_f32_e32 v22, v44, v22
	v_fmamk_f32 v10, v15, 0xbf3504f3, v17
	v_fma_f32 v35, v35, 2.0, -v11
	v_fma_f32 v7, v7, 2.0, -v25
	v_dual_fmac_f32 v41, 0x3f3504f3, v15 :: v_dual_fmac_f32 v54, 0x3f3504f3, v14
	v_fma_f32 v14, v18, 2.0, -v9
	v_fmamk_f32 v55, v40, 0xbec3ef15, v37
	s_delay_alu instid0(VALU_DEP_4) | instskip(SKIP_4) | instid1(VALU_DEP_4)
	v_sub_f32_e32 v7, v35, v7
	v_fma_f32 v15, v19, 2.0, -v38
	v_dual_add_f32 v25, v24, v25 :: v_dual_fmac_f32 v52, 0x3f3504f3, v47
	v_fma_f32 v19, v46, 2.0, -v23
	v_fma_f32 v32, v32, 2.0, -v39
	v_fmamk_f32 v47, v15, 0xbf3504f3, v14
	v_fmac_f32_e32 v10, 0xbf3504f3, v48
	v_fma_f32 v13, v13, 2.0, -v52
	v_sub_f32_e32 v39, v11, v39
	v_fma_f32 v12, v12, 2.0, -v50
	v_fmac_f32_e32 v47, 0xbf3504f3, v19
	v_fmamk_f32 v42, v38, 0x3f3504f3, v9
	v_fma_f32 v16, v16, 2.0, -v53
	v_fma_f32 v17, v17, 2.0, -v10
	;; [unrolled: 1-line block ×3, first 2 shown]
	v_fmamk_f32 v44, v23, 0x3f3504f3, v22
	v_fma_f32 v36, v36, 2.0, -v54
	v_fma_f32 v43, v43, 2.0, -v41
	v_dual_fmamk_f32 v56, v13, 0xbec3ef15, v12 :: v_dual_fmac_f32 v45, 0xbec3ef15, v52
	v_dual_fmamk_f32 v57, v10, 0x3ec3ef15, v53 :: v_dual_fmamk_f32 v58, v41, 0x3ec3ef15, v54
	v_dual_fmac_f32 v42, 0xbf3504f3, v23 :: v_dual_sub_f32 v23, v20, v32
	v_dual_fmamk_f32 v32, v17, 0xbf6c835e, v16 :: v_dual_fmac_f32 v55, 0xbf6c835e, v13
	v_fmamk_f32 v48, v19, 0xbf3504f3, v18
	v_fmac_f32_e32 v44, 0x3f3504f3, v38
	v_dual_fmamk_f32 v38, v43, 0xbf6c835e, v36 :: v_dual_fmac_f32 v57, 0xbf6c835e, v41
	v_fmac_f32_e32 v56, 0x3f6c835e, v40
	v_add_nc_u32_e32 v82, 0x400, v4
	v_fmac_f32_e32 v58, 0x3f6c835e, v10
	v_fma_f32 v9, v9, 2.0, -v42
	v_fma_f32 v10, v49, 2.0, -v45
	v_fmac_f32_e32 v32, 0xbec3ef15, v43
	v_fmac_f32_e32 v48, 0x3f3504f3, v15
	v_fma_f32 v14, v14, 2.0, -v47
	v_fma_f32 v15, v37, 2.0, -v55
	;; [unrolled: 1-line block ×5, first 2 shown]
	ds_store_2addr_b32 v86, v42, v45 offset0:72 offset1:132
	v_fma_f32 v13, v35, 2.0, -v7
	ds_store_2addr_b32 v82, v9, v10 offset0:104 offset1:164
	ds_store_2addr_b32 v84, v47, v55 offset0:88 offset1:148
	;; [unrolled: 1-line block ×3, first 2 shown]
	v_fma_f32 v9, v16, 2.0, -v32
	v_fma_f32 v35, v20, 2.0, -v23
	v_fmac_f32_e32 v38, 0x3ec3ef15, v17
	v_fma_f32 v40, v18, 2.0, -v48
	ds_store_2addr_b32 v4, v14, v15 offset0:120 offset1:180
	ds_store_2addr_b32 v81, v11, v12 offset0:112 offset1:172
	;; [unrolled: 1-line block ×3, first 2 shown]
	ds_store_2addr_b32 v4, v13, v9 offset1:60
	global_wb scope:SCOPE_SE
	s_wait_dscnt 0x0
	s_barrier_signal -1
	s_barrier_wait -1
	global_inv scope:SCOPE_SE
	ds_load_2addr_b32 v[13:14], v30 offset0:64 offset1:184
	ds_load_b32 v32, v31
	ds_load_b32 v30, v0 offset:480
	ds_load_2addr_b32 v[7:8], v8 offset0:112 offset1:232
	ds_load_2addr_b32 v[15:16], v28 offset0:48 offset1:168
	ds_load_2addr_b32 v[9:10], v26 offset0:96 offset1:216
	ds_load_2addr_b32 v[17:18], v33 offset0:32 offset1:152
	ds_load_2addr_b32 v[11:12], v27 offset0:80 offset1:200
	ds_load_2addr_b32 v[19:20], v34 offset0:16 offset1:136
	v_fmamk_f32 v46, v52, 0x3f6c835e, v50
	v_fma_f32 v36, v36, 2.0, -v38
	v_fma_f32 v24, v24, 2.0, -v25
	;; [unrolled: 1-line block ×4, first 2 shown]
	v_fmac_f32_e32 v46, 0x3ec3ef15, v51
	global_wb scope:SCOPE_SE
	s_wait_dscnt 0x0
	s_barrier_signal -1
	s_barrier_wait -1
	global_inv scope:SCOPE_SE
	v_fma_f32 v27, v50, 2.0, -v46
	ds_store_2addr_b32 v4, v35, v36 offset1:60
	ds_store_2addr_b32 v4, v40, v37 offset0:120 offset1:180
	ds_store_2addr_b32 v81, v24, v26 offset0:112 offset1:172
	;; [unrolled: 1-line block ×7, first 2 shown]
	global_wb scope:SCOPE_SE
	s_wait_dscnt 0x0
	s_barrier_signal -1
	s_barrier_wait -1
	global_inv scope:SCOPE_SE
	s_and_saveexec_b32 s0, vcc_lo
	s_cbranch_execz .LBB0_29
; %bb.28:
	v_dual_mov_b32 v4, v21 :: v_dual_add_nc_u32 v41, 0xa00, v29
	v_mul_lo_u32 v47, s3, v5
	v_mul_lo_u32 v6, s2, v6
	v_add_nc_u32_e32 v52, 0x2d0, v3
	s_delay_alu instid0(VALU_DEP_4)
	v_lshlrev_b64_e32 v[21:22], 3, v[3:4]
	v_mad_co_u64_u32 v[4:5], null, s2, v5, 0
	v_add_nc_u32_e32 v49, 0x168, v3
	v_add_nc_u32_e32 v50, 0x1e0, v3
	;; [unrolled: 1-line block ×3, first 2 shown]
	v_add_co_u32 v33, vcc_lo, s8, v21
	s_wait_alu 0xfffd
	v_add_co_ci_u32_e32 v34, vcc_lo, s9, v22, vcc_lo
	v_add3_u32 v5, v5, v6, v47
	v_mul_hi_u32 v47, 0x88888889, v52
	v_mul_hi_u32 v55, 0x88888889, v49
	s_clause 0x7
	global_load_b64 v[21:22], v[33:34], off offset:14320
	global_load_b64 v[23:24], v[33:34], off offset:13360
	;; [unrolled: 1-line block ×8, first 2 shown]
	v_mul_hi_u32 v56, 0x88888889, v50
	v_mul_hi_u32 v6, 0x88888889, v51
	v_add_nc_u32_e32 v53, 0x348, v3
	ds_load_b32 v89, v0 offset:480
	ds_load_b32 v90, v31
	v_add_nc_u32_e32 v48, 0xf0, v3
	v_lshrrev_b32_e32 v47, 9, v47
	v_lshrrev_b32_e32 v55, 9, v55
	v_mul_hi_u32 v57, 0x88888889, v53
	v_lshrrev_b32_e32 v56, 9, v56
	v_lshrrev_b32_e32 v6, 9, v6
	v_mul_u32_u24_e32 v64, 0x3c0, v47
	v_mul_u32_u24_e32 v61, 0x3c0, v55
	v_mul_hi_u32 v54, 0x88888889, v48
	v_mul_u32_u24_e32 v62, 0x3c0, v56
	v_mul_u32_u24_e32 v63, 0x3c0, v6
	v_sub_nc_u32_e32 v52, v52, v64
	v_sub_nc_u32_e32 v49, v49, v61
	v_lshrrev_b32_e32 v57, 9, v57
	v_sub_nc_u32_e32 v50, v50, v62
	v_sub_nc_u32_e32 v51, v51, v63
	v_mad_u32_u24 v76, 0x780, v47, v52
	v_mad_u32_u24 v70, 0x780, v55, v49
	v_lshrrev_b32_e32 v54, 9, v54
	v_mad_u32_u24 v71, 0x780, v56, v50
	v_mad_u32_u24 v75, 0x780, v6, v51
	v_mad_co_u64_u32 v[55:56], null, s16, v76, 0
	v_add_nc_u32_e32 v31, 0x78, v3
	s_delay_alu instid0(VALU_DEP_4) | instskip(SKIP_2) | instid1(VALU_DEP_4)
	v_mad_co_u64_u32 v[51:52], null, s16, v71, 0
	v_add_nc_u32_e32 v88, 0xe00, v0
	v_lshlrev_b64_e32 v[0:1], 3, v[1:2]
	v_mul_hi_u32 v2, 0x88888889, v31
	v_mul_u32_u24_e32 v65, 0x3c0, v57
	v_mul_u32_u24_e32 v60, 0x3c0, v54
	v_lshlrev_b64_e32 v[4:5], 3, v[4:5]
	v_add_nc_u32_e32 v84, 0x1200, v29
	v_mad_co_u64_u32 v[49:50], null, s16, v70, 0
	v_sub_nc_u32_e32 v53, v53, v65
	v_lshrrev_b32_e32 v58, 9, v2
	v_sub_nc_u32_e32 v48, v48, v60
	v_add_co_u32 v4, vcc_lo, s6, v4
	s_delay_alu instid0(VALU_DEP_4) | instskip(NEXT) | instid1(VALU_DEP_4)
	v_mad_u32_u24 v77, 0x780, v57, v53
	v_mul_u32_u24_e32 v59, 0x3c0, v58
	s_wait_alu 0xfffd
	v_add_co_ci_u32_e32 v5, vcc_lo, s7, v5, vcc_lo
	v_mad_u32_u24 v69, 0x780, v54, v48
	v_add_co_u32 v91, vcc_lo, v4, v0
	v_sub_nc_u32_e32 v31, v31, v59
	v_dual_mov_b32 v6, v50 :: v_dual_add_nc_u32 v43, 0x1a00, v29
	s_wait_alu 0xfffd
	v_add_co_ci_u32_e32 v92, vcc_lo, v5, v1, vcc_lo
	s_delay_alu instid0(VALU_DEP_3)
	v_mad_u32_u24 v31, 0x780, v58, v31
	v_mad_co_u64_u32 v[57:58], null, s16, v77, 0
	v_add_nc_u32_e32 v74, 0x3c0, v70
	v_mad_co_u64_u32 v[47:48], null, s16, v69, 0
	v_add_nc_u32_e32 v82, 0x200, v29
	;; [unrolled: 2-line block ×4, first 2 shown]
	v_mul_hi_u32 v29, 0x88888889, v3
	v_mad_co_u64_u32 v[53:54], null, s16, v75, 0
	v_add_nc_u32_e32 v73, 0x3c0, v69
	v_add_nc_u32_e32 v81, 0x3c0, v71
	s_delay_alu instid0(VALU_DEP_4) | instskip(NEXT) | instid1(VALU_DEP_3)
	v_lshrrev_b32_e32 v29, 9, v29
	v_mad_co_u64_u32 v[62:63], null, s16, v73, 0
	s_delay_alu instid0(VALU_DEP_2) | instskip(NEXT) | instid1(VALU_DEP_1)
	v_mul_u32_u24_e32 v29, 0x3c0, v29
	v_sub_nc_u32_e32 v29, v3, v29
	s_delay_alu instid0(VALU_DEP_1) | instskip(SKIP_1) | instid1(VALU_DEP_2)
	v_add_nc_u32_e32 v66, 0x3c0, v29
	v_mad_co_u64_u32 v[2:3], null, s16, v29, 0
	v_mad_co_u64_u32 v[0:1], null, s16, v66, 0
	s_delay_alu instid0(VALU_DEP_2) | instskip(SKIP_1) | instid1(VALU_DEP_3)
	v_mad_co_u64_u32 v[59:60], null, s17, v29, v[3:4]
	v_mov_b32_e32 v29, v52
	v_mad_co_u64_u32 v[66:67], null, s17, v66, v[1:2]
	v_mov_b32_e32 v1, v5
	v_mov_b32_e32 v5, v48
	;; [unrolled: 1-line block ×3, first 2 shown]
	s_delay_alu instid0(VALU_DEP_3) | instskip(SKIP_1) | instid1(VALU_DEP_4)
	v_mad_co_u64_u32 v[67:68], null, s17, v31, v[1:2]
	v_add_nc_u32_e32 v72, 0x3c0, v31
	v_mad_co_u64_u32 v[68:69], null, s17, v69, v[5:6]
	v_mad_co_u64_u32 v[69:70], null, s17, v70, v[6:7]
	s_delay_alu instid0(VALU_DEP_3)
	v_mad_co_u64_u32 v[60:61], null, s16, v72, 0
	v_dual_mov_b32 v5, v63 :: v_dual_mov_b32 v6, v65
	v_mov_b32_e32 v1, v66
	v_mad_co_u64_u32 v[65:66], null, s17, v71, v[29:30]
	v_mov_b32_e32 v29, v54
	v_dual_mov_b32 v31, v61 :: v_dual_mov_b32 v48, v68
	ds_load_2addr_b32 v[41:42], v41 offset0:80 offset1:200
	ds_load_2addr_b32 v[43:44], v43 offset0:16 offset1:136
	;; [unrolled: 1-line block ×3, first 2 shown]
	v_lshlrev_b64_e32 v[2:3], 3, v[2:3]
	v_lshlrev_b64_e32 v[0:1], 3, v[0:1]
	v_mad_co_u64_u32 v[70:71], null, s17, v72, v[31:32]
	v_mad_co_u64_u32 v[71:72], null, s17, v73, v[5:6]
	v_mov_b32_e32 v5, v67
	v_mad_co_u64_u32 v[72:73], null, s17, v74, v[6:7]
	v_mad_co_u64_u32 v[73:74], null, s17, v75, v[29:30]
	v_dual_mov_b32 v29, v58 :: v_dual_mov_b32 v6, v56
	v_mov_b32_e32 v50, v69
	v_add_co_u32 v2, vcc_lo, v91, v2
	s_delay_alu instid0(VALU_DEP_3)
	v_mad_co_u64_u32 v[66:67], null, s17, v77, v[29:30]
	v_mov_b32_e32 v54, v73
	v_mad_co_u64_u32 v[67:68], null, s16, v81, 0
	v_add_nc_u32_e32 v31, 0x3c0, v75
	v_mad_co_u64_u32 v[58:59], null, s17, v76, v[6:7]
	v_add_nc_u32_e32 v59, 0x3c0, v76
	v_lshlrev_b64_e32 v[4:5], 3, v[4:5]
	s_wait_alu 0xfffd
	v_add_co_ci_u32_e32 v3, vcc_lo, v92, v3, vcc_lo
	v_mov_b32_e32 v6, v68
	v_mad_co_u64_u32 v[74:75], null, s16, v31, 0
	v_add_nc_u32_e32 v86, 0x3c0, v77
	v_mov_b32_e32 v56, v58
	v_mov_b32_e32 v58, v66
	v_mad_co_u64_u32 v[76:77], null, s16, v59, 0
	v_mad_co_u64_u32 v[68:69], null, s17, v81, v[6:7]
	v_mov_b32_e32 v29, v75
	v_mad_co_u64_u32 v[78:79], null, s16, v86, 0
	s_delay_alu instid0(VALU_DEP_4) | instskip(NEXT) | instid1(VALU_DEP_3)
	v_dual_mov_b32 v61, v70 :: v_dual_mov_b32 v6, v77
	v_mad_co_u64_u32 v[69:70], null, s17, v31, v[29:30]
	v_lshlrev_b64_e32 v[47:48], 3, v[47:48]
	v_add_co_u32 v0, vcc_lo, v91, v0
	v_dual_mov_b32 v29, v79 :: v_dual_mov_b32 v52, v65
	s_wait_alu 0xfffd
	v_add_co_ci_u32_e32 v1, vcc_lo, v92, v1, vcc_lo
	v_mov_b32_e32 v63, v71
	v_mad_co_u64_u32 v[70:71], null, s17, v59, v[6:7]
	v_lshlrev_b64_e32 v[49:50], 3, v[49:50]
	v_add_co_u32 v4, vcc_lo, v91, v4
	ds_load_2addr_b32 v[80:81], v80 offset0:32 offset1:152
	ds_load_2addr_b32 v[84:85], v84 offset0:48 offset1:168
	s_wait_alu 0xfffd
	v_add_co_ci_u32_e32 v5, vcc_lo, v92, v5, vcc_lo
	v_lshlrev_b64_e32 v[51:52], 3, v[51:52]
	v_add_co_u32 v47, vcc_lo, v91, v47
	s_wait_alu 0xfffd
	v_add_co_ci_u32_e32 v48, vcc_lo, v92, v48, vcc_lo
	v_lshlrev_b64_e32 v[53:54], 3, v[53:54]
	v_add_co_u32 v49, vcc_lo, v91, v49
	;; [unrolled: 4-line block ×3, first 2 shown]
	ds_load_2addr_b32 v[82:83], v82 offset0:112 offset1:232
	s_wait_alu 0xfffd
	v_add_co_ci_u32_e32 v52, vcc_lo, v92, v52, vcc_lo
	v_lshlrev_b64_e32 v[57:58], 3, v[57:58]
	v_add_co_u32 v53, vcc_lo, v91, v53
	s_wait_alu 0xfffd
	v_add_co_ci_u32_e32 v54, vcc_lo, v92, v54, vcc_lo
	v_lshlrev_b64_e32 v[59:60], 3, v[60:61]
	v_add_co_u32 v55, vcc_lo, v91, v55
	v_mov_b32_e32 v65, v72
	v_mov_b32_e32 v75, v69
	s_wait_alu 0xfffd
	v_add_co_ci_u32_e32 v56, vcc_lo, v92, v56, vcc_lo
	v_add_co_u32 v57, vcc_lo, v91, v57
	s_wait_alu 0xfffd
	v_add_co_ci_u32_e32 v58, vcc_lo, v92, v58, vcc_lo
	v_mov_b32_e32 v77, v70
	v_add_co_u32 v59, vcc_lo, v91, v59
	s_wait_alu 0xfffd
	v_add_co_ci_u32_e32 v60, vcc_lo, v92, v60, vcc_lo
	s_wait_loadcnt 0x7
	v_mul_f32_e32 v6, v20, v22
	s_wait_dscnt 0x4
	v_mul_f32_e32 v22, v44, v22
	v_mad_co_u64_u32 v[86:87], null, s17, v86, v[29:30]
	ds_load_2addr_b32 v[87:88], v88 offset0:64 offset1:184
	v_lshlrev_b64_e32 v[61:62], 3, v[62:63]
	s_wait_loadcnt 0x6
	v_mul_f32_e32 v29, v19, v24
	v_mul_f32_e32 v24, v43, v24
	v_lshlrev_b64_e32 v[63:64], 3, v[64:65]
	v_lshlrev_b64_e32 v[65:66], 3, v[67:68]
	v_mov_b32_e32 v79, v86
	s_wait_loadcnt 0x5
	v_mul_f32_e32 v31, v18, v26
	s_wait_dscnt 0x3
	v_mul_f32_e32 v26, v81, v26
	s_wait_loadcnt 0x4
	v_dual_mul_f32 v73, v17, v28 :: v_dual_fmac_f32 v6, v44, v21
	v_mul_f32_e32 v28, v80, v28
	v_lshlrev_b64_e32 v[67:68], 3, v[74:75]
	s_wait_loadcnt 0x3
	v_mul_f32_e32 v74, v16, v36
	s_wait_loadcnt_dscnt 0x202
	v_dual_mul_f32 v36, v85, v36 :: v_dual_mul_f32 v75, v15, v38
	s_wait_loadcnt 0x1
	v_mul_f32_e32 v44, v14, v40
	v_mul_f32_e32 v38, v84, v38
	v_fma_f32 v20, v20, v21, -v22
	v_add_co_u32 v61, vcc_lo, v91, v61
	s_wait_loadcnt_dscnt 0x0
	v_dual_mul_f32 v21, v88, v40 :: v_dual_mul_f32 v40, v13, v34
	v_dual_mul_f32 v22, v87, v34 :: v_dual_fmac_f32 v31, v81, v25
	s_wait_alu 0xfffd
	v_add_co_ci_u32_e32 v62, vcc_lo, v92, v62, vcc_lo
	v_fmac_f32_e32 v29, v43, v23
	v_fma_f32 v19, v19, v23, -v24
	v_fma_f32 v23, v18, v25, -v26
	v_dual_fmac_f32 v73, v80, v27 :: v_dual_fmac_f32 v40, v87, v33
	v_fma_f32 v24, v17, v27, -v28
	v_dual_fmac_f32 v74, v85, v35 :: v_dual_fmac_f32 v75, v84, v37
	v_fma_f32 v25, v16, v35, -v36
	v_fma_f32 v26, v15, v37, -v38
	v_fmac_f32_e32 v44, v88, v39
	v_fma_f32 v27, v14, v39, -v21
	v_fma_f32 v33, v13, v33, -v22
	v_add_co_u32 v63, vcc_lo, v91, v63
	s_wait_alu 0xfffd
	v_add_co_ci_u32_e32 v64, vcc_lo, v92, v64, vcc_lo
	v_lshlrev_b64_e32 v[69:70], 3, v[76:77]
	v_add_co_u32 v65, vcc_lo, v91, v65
	v_sub_f32_e32 v15, v11, v19
	v_dual_sub_f32 v18, v46, v31 :: v_dual_sub_f32 v21, v8, v25
	v_dual_sub_f32 v17, v10, v23 :: v_dual_sub_f32 v22, v83, v74
	;; [unrolled: 1-line block ×4, first 2 shown]
	v_sub_f32_e32 v25, v30, v27
	v_dual_sub_f32 v28, v90, v40 :: v_dual_sub_f32 v27, v32, v33
	s_wait_alu 0xfffd
	v_add_co_ci_u32_e32 v66, vcc_lo, v92, v66, vcc_lo
	v_lshlrev_b64_e32 v[71:72], 3, v[78:79]
	v_add_co_u32 v67, vcc_lo, v91, v67
	s_wait_alu 0xfffd
	v_add_co_ci_u32_e32 v68, vcc_lo, v92, v68, vcc_lo
	v_add_co_u32 v69, vcc_lo, v91, v69
	v_dual_sub_f32 v14, v42, v6 :: v_dual_sub_f32 v13, v12, v20
	v_sub_f32_e32 v16, v41, v29
	v_sub_f32_e32 v20, v45, v73
	v_fma_f32 v40, v90, 2.0, -v28
	v_fma_f32 v39, v32, 2.0, -v27
	s_wait_alu 0xfffd
	v_add_co_ci_u32_e32 v70, vcc_lo, v92, v70, vcc_lo
	v_fma_f32 v31, v89, 2.0, -v26
	v_fma_f32 v30, v30, 2.0, -v25
	v_add_co_u32 v71, vcc_lo, v91, v71
	v_fma_f32 v37, v8, 2.0, -v21
	v_fma_f32 v8, v82, 2.0, -v24
	;; [unrolled: 1-line block ×3, first 2 shown]
	s_wait_alu 0xfffd
	v_add_co_ci_u32_e32 v72, vcc_lo, v92, v72, vcc_lo
	v_fma_f32 v34, v42, 2.0, -v14
	v_fma_f32 v33, v12, 2.0, -v13
	;; [unrolled: 1-line block ×9, first 2 shown]
	s_clause 0xf
	global_store_b64 v[2:3], v[39:40], off
	global_store_b64 v[0:1], v[27:28], off
	;; [unrolled: 1-line block ×16, first 2 shown]
.LBB0_29:
	s_nop 0
	s_sendmsg sendmsg(MSG_DEALLOC_VGPRS)
	s_endpgm
	.section	.rodata,"a",@progbits
	.p2align	6, 0x0
	.amdhsa_kernel fft_rtc_fwd_len1920_factors_10_6_16_2_wgs_240_tpt_120_halfLds_sp_op_CI_CI_sbrr_dirReg
		.amdhsa_group_segment_fixed_size 0
		.amdhsa_private_segment_fixed_size 0
		.amdhsa_kernarg_size 104
		.amdhsa_user_sgpr_count 2
		.amdhsa_user_sgpr_dispatch_ptr 0
		.amdhsa_user_sgpr_queue_ptr 0
		.amdhsa_user_sgpr_kernarg_segment_ptr 1
		.amdhsa_user_sgpr_dispatch_id 0
		.amdhsa_user_sgpr_private_segment_size 0
		.amdhsa_wavefront_size32 1
		.amdhsa_uses_dynamic_stack 0
		.amdhsa_enable_private_segment 0
		.amdhsa_system_sgpr_workgroup_id_x 1
		.amdhsa_system_sgpr_workgroup_id_y 0
		.amdhsa_system_sgpr_workgroup_id_z 0
		.amdhsa_system_sgpr_workgroup_info 0
		.amdhsa_system_vgpr_workitem_id 0
		.amdhsa_next_free_vgpr 93
		.amdhsa_next_free_sgpr 43
		.amdhsa_reserve_vcc 1
		.amdhsa_float_round_mode_32 0
		.amdhsa_float_round_mode_16_64 0
		.amdhsa_float_denorm_mode_32 3
		.amdhsa_float_denorm_mode_16_64 3
		.amdhsa_fp16_overflow 0
		.amdhsa_workgroup_processor_mode 1
		.amdhsa_memory_ordered 1
		.amdhsa_forward_progress 0
		.amdhsa_round_robin_scheduling 0
		.amdhsa_exception_fp_ieee_invalid_op 0
		.amdhsa_exception_fp_denorm_src 0
		.amdhsa_exception_fp_ieee_div_zero 0
		.amdhsa_exception_fp_ieee_overflow 0
		.amdhsa_exception_fp_ieee_underflow 0
		.amdhsa_exception_fp_ieee_inexact 0
		.amdhsa_exception_int_div_zero 0
	.end_amdhsa_kernel
	.text
.Lfunc_end0:
	.size	fft_rtc_fwd_len1920_factors_10_6_16_2_wgs_240_tpt_120_halfLds_sp_op_CI_CI_sbrr_dirReg, .Lfunc_end0-fft_rtc_fwd_len1920_factors_10_6_16_2_wgs_240_tpt_120_halfLds_sp_op_CI_CI_sbrr_dirReg
                                        ; -- End function
	.section	.AMDGPU.csdata,"",@progbits
; Kernel info:
; codeLenInByte = 11692
; NumSgprs: 45
; NumVgprs: 93
; ScratchSize: 0
; MemoryBound: 0
; FloatMode: 240
; IeeeMode: 1
; LDSByteSize: 0 bytes/workgroup (compile time only)
; SGPRBlocks: 5
; VGPRBlocks: 11
; NumSGPRsForWavesPerEU: 45
; NumVGPRsForWavesPerEU: 93
; Occupancy: 16
; WaveLimiterHint : 1
; COMPUTE_PGM_RSRC2:SCRATCH_EN: 0
; COMPUTE_PGM_RSRC2:USER_SGPR: 2
; COMPUTE_PGM_RSRC2:TRAP_HANDLER: 0
; COMPUTE_PGM_RSRC2:TGID_X_EN: 1
; COMPUTE_PGM_RSRC2:TGID_Y_EN: 0
; COMPUTE_PGM_RSRC2:TGID_Z_EN: 0
; COMPUTE_PGM_RSRC2:TIDIG_COMP_CNT: 0
	.text
	.p2alignl 7, 3214868480
	.fill 96, 4, 3214868480
	.type	__hip_cuid_5b5c5aadf0da7721,@object ; @__hip_cuid_5b5c5aadf0da7721
	.section	.bss,"aw",@nobits
	.globl	__hip_cuid_5b5c5aadf0da7721
__hip_cuid_5b5c5aadf0da7721:
	.byte	0                               ; 0x0
	.size	__hip_cuid_5b5c5aadf0da7721, 1

	.ident	"AMD clang version 19.0.0git (https://github.com/RadeonOpenCompute/llvm-project roc-6.4.0 25133 c7fe45cf4b819c5991fe208aaa96edf142730f1d)"
	.section	".note.GNU-stack","",@progbits
	.addrsig
	.addrsig_sym __hip_cuid_5b5c5aadf0da7721
	.amdgpu_metadata
---
amdhsa.kernels:
  - .args:
      - .actual_access:  read_only
        .address_space:  global
        .offset:         0
        .size:           8
        .value_kind:     global_buffer
      - .offset:         8
        .size:           8
        .value_kind:     by_value
      - .actual_access:  read_only
        .address_space:  global
        .offset:         16
        .size:           8
        .value_kind:     global_buffer
      - .actual_access:  read_only
        .address_space:  global
        .offset:         24
        .size:           8
        .value_kind:     global_buffer
      - .actual_access:  read_only
        .address_space:  global
        .offset:         32
        .size:           8
        .value_kind:     global_buffer
      - .offset:         40
        .size:           8
        .value_kind:     by_value
      - .actual_access:  read_only
        .address_space:  global
        .offset:         48
        .size:           8
        .value_kind:     global_buffer
      - .actual_access:  read_only
        .address_space:  global
        .offset:         56
        .size:           8
        .value_kind:     global_buffer
      - .offset:         64
        .size:           4
        .value_kind:     by_value
      - .actual_access:  read_only
        .address_space:  global
        .offset:         72
        .size:           8
        .value_kind:     global_buffer
      - .actual_access:  read_only
        .address_space:  global
        .offset:         80
        .size:           8
        .value_kind:     global_buffer
      - .actual_access:  read_only
        .address_space:  global
        .offset:         88
        .size:           8
        .value_kind:     global_buffer
      - .actual_access:  write_only
        .address_space:  global
        .offset:         96
        .size:           8
        .value_kind:     global_buffer
    .group_segment_fixed_size: 0
    .kernarg_segment_align: 8
    .kernarg_segment_size: 104
    .language:       OpenCL C
    .language_version:
      - 2
      - 0
    .max_flat_workgroup_size: 240
    .name:           fft_rtc_fwd_len1920_factors_10_6_16_2_wgs_240_tpt_120_halfLds_sp_op_CI_CI_sbrr_dirReg
    .private_segment_fixed_size: 0
    .sgpr_count:     45
    .sgpr_spill_count: 0
    .symbol:         fft_rtc_fwd_len1920_factors_10_6_16_2_wgs_240_tpt_120_halfLds_sp_op_CI_CI_sbrr_dirReg.kd
    .uniform_work_group_size: 1
    .uses_dynamic_stack: false
    .vgpr_count:     93
    .vgpr_spill_count: 0
    .wavefront_size: 32
    .workgroup_processor_mode: 1
amdhsa.target:   amdgcn-amd-amdhsa--gfx1201
amdhsa.version:
  - 1
  - 2
...

	.end_amdgpu_metadata
